;; amdgpu-corpus repo=ROCm/rocFFT kind=compiled arch=gfx950 opt=O3
	.text
	.amdgcn_target "amdgcn-amd-amdhsa--gfx950"
	.amdhsa_code_object_version 6
	.protected	bluestein_single_back_len3000_dim1_dp_op_CI_CI ; -- Begin function bluestein_single_back_len3000_dim1_dp_op_CI_CI
	.globl	bluestein_single_back_len3000_dim1_dp_op_CI_CI
	.p2align	8
	.type	bluestein_single_back_len3000_dim1_dp_op_CI_CI,@function
bluestein_single_back_len3000_dim1_dp_op_CI_CI: ; @bluestein_single_back_len3000_dim1_dp_op_CI_CI
; %bb.0:
	s_load_dwordx4 s[12:15], s[0:1], 0x28
	v_mul_u32_u24_e32 v1, 0x290, v0
	v_add_u32_sdwa v240, s2, v1 dst_sel:DWORD dst_unused:UNUSED_PAD src0_sel:DWORD src1_sel:WORD_1
	v_mov_b32_e32 v241, 0
	s_waitcnt lgkmcnt(0)
	v_cmp_gt_u64_e32 vcc, s[12:13], v[240:241]
	s_and_saveexec_b64 s[2:3], vcc
	s_cbranch_execz .LBB0_2
; %bb.1:
	s_load_dwordx4 s[4:7], s[0:1], 0x0
	s_load_dwordx4 s[8:11], s[0:1], 0x18
	s_load_dwordx2 s[2:3], s[0:1], 0x38
	s_movk_i32 s0, 0x64
	v_mul_lo_u16_sdwa v1, v1, s0 dst_sel:DWORD dst_unused:UNUSED_PAD src0_sel:WORD_1 src1_sel:DWORD
	s_mov_b32 s0, 0
	v_mov_b32_e32 v157, s0
	s_waitcnt lgkmcnt(0)
	v_mov_b32_e32 v4, s2
	v_mov_b32_e32 v5, s3
	s_load_dwordx4 s[0:3], s[10:11], 0x0
	scratch_store_dwordx2 off, v[4:5], off offset:28 ; 8-byte Folded Spill
	v_sub_u16_e32 v156, v0, v1
	v_mov_b32_e32 v2, s14
	v_mov_b32_e32 v3, s15
	s_waitcnt lgkmcnt(0)
	v_mad_u64_u32 v[4:5], s[10:11], s2, v240, 0
	s_load_dwordx4 s[8:11], s[8:9], 0x0
	v_mov_b32_e32 v0, v5
	v_mad_u64_u32 v[0:1], s[2:3], s3, v240, v[0:1]
	v_mov_b32_e32 v5, v0
	s_waitcnt lgkmcnt(0)
	v_mad_u64_u32 v[0:1], s[2:3], s10, v240, 0
	scratch_store_dwordx2 off, v[4:5], off offset:36 ; 8-byte Folded Spill
	v_mov_b32_e32 v4, v1
	v_mad_u64_u32 v[4:5], s[2:3], s11, v240, v[4:5]
	v_mov_b32_e32 v1, v4
	v_mad_u64_u32 v[4:5], s[2:3], s8, v156, 0
	;; [unrolled: 2-line block ×3, first 2 shown]
	v_mov_b32_e32 v5, v6
	v_lshl_add_u64 v[0:1], v[0:1], 4, v[2:3]
	v_lshl_add_u64 v[8:9], v[4:5], 4, v[0:1]
	v_lshlrev_b32_e32 v240, 4, v156
	global_load_dwordx4 v[0:3], v[8:9], off
	global_load_dwordx4 v[10:13], v240, s[4:5]
	s_mov_b64 s[2:3], 0x12c
	v_mov_b32_e32 v242, 0x12c0
	v_lshl_add_u64 v[128:129], s[4:5], 0, v[240:241]
	v_lshl_add_u64 v[140:141], v[156:157], 0, s[2:3]
	s_movk_i32 s25, 0x1000
	s_mov_b64 s[10:11], 0x258
	v_lshl_add_u64 v[138:139], v[156:157], 0, s[10:11]
	s_movk_i32 s24, 0x4000
	s_mov_b32 s26, 0x8000
	s_mov_b32 s13, 0xbfe2cf23
	;; [unrolled: 1-line block ×7, first 2 shown]
	s_movk_i32 s20, 0xcd
	s_mov_b32 s23, 0xbfebb67a
	s_movk_i32 s28, 0x89
	s_movk_i32 s27, 0x90
	s_waitcnt vmcnt(0)
	scratch_store_dwordx4 off, v[10:13], off offset:44 ; 16-byte Folded Spill
	v_mul_f64 v[4:5], v[2:3], v[12:13]
	v_fmac_f64_e32 v[4:5], v[0:1], v[10:11]
	v_mul_f64 v[0:1], v[0:1], v[12:13]
	v_fma_f64 v[6:7], v[2:3], v[10:11], -v[0:1]
	v_mad_u64_u32 v[10:11], s[2:3], s8, v242, v[8:9]
	s_mul_i32 s2, s9, 0x12c0
	v_add_co_u32_e32 v8, vcc, s25, v128
	v_add_u32_e32 v11, s2, v11
	s_nop 0
	v_addc_co_u32_e32 v9, vcc, 0, v129, vcc
	global_load_dwordx4 v[0:3], v[10:11], off
	global_load_dwordx4 v[12:15], v[8:9], off offset:704
	ds_write_b128 v240, v[4:7]
	s_movk_i32 s3, 0x2000
	s_waitcnt vmcnt(0)
	scratch_store_dwordx4 off, v[12:15], off offset:76 ; 16-byte Folded Spill
	v_mul_f64 v[4:5], v[2:3], v[14:15]
	v_fmac_f64_e32 v[4:5], v[0:1], v[12:13]
	v_mul_f64 v[0:1], v[0:1], v[14:15]
	v_fma_f64 v[6:7], v[2:3], v[12:13], -v[0:1]
	ds_write_b128 v240, v[4:7] offset:4800
	v_mad_u64_u32 v[6:7], s[10:11], s8, v242, v[10:11]
	v_add_co_u32_e32 v0, vcc, s3, v128
	v_add_u32_e32 v7, s2, v7
	s_nop 0
	v_addc_co_u32_e32 v1, vcc, 0, v129, vcc
	global_load_dwordx4 v[2:5], v[6:7], off
	global_load_dwordx4 v[12:15], v[0:1], off offset:1408
	s_mov_b64 s[10:11], 0x384
	s_movk_i32 s3, 0x3000
	v_lshl_add_u64 v[136:137], v[156:157], 0, s[10:11]
	v_mad_u64_u32 v[6:7], s[10:11], s8, v242, v[6:7]
	v_add_co_u32_e32 v16, vcc, s3, v128
	v_add_u32_e32 v7, s2, v7
	s_nop 0
	v_addc_co_u32_e32 v17, vcc, 0, v129, vcc
	s_movk_i32 s3, 0x5000
	s_waitcnt vmcnt(0)
	scratch_store_dwordx4 off, v[12:15], off offset:92 ; 16-byte Folded Spill
	v_mul_f64 v[10:11], v[4:5], v[14:15]
	v_fmac_f64_e32 v[10:11], v[2:3], v[12:13]
	v_mul_f64 v[2:3], v[2:3], v[14:15]
	v_fma_f64 v[12:13], v[4:5], v[12:13], -v[2:3]
	ds_write_b128 v240, v[10:13] offset:9600
	global_load_dwordx4 v[2:5], v[6:7], off
	global_load_dwordx4 v[12:15], v[16:17], off offset:2112
	v_mad_u64_u32 v[6:7], s[10:11], s8, v242, v[6:7]
	v_add_u32_e32 v7, s2, v7
	s_waitcnt vmcnt(0)
	v_mul_f64 v[10:11], v[4:5], v[14:15]
	v_fmac_f64_e32 v[10:11], v[2:3], v[12:13]
	v_mul_f64 v[2:3], v[2:3], v[14:15]
	scratch_store_dwordx4 off, v[12:15], off offset:108 ; 16-byte Folded Spill
	s_nop 1
	v_fma_f64 v[12:13], v[4:5], v[12:13], -v[2:3]
	ds_write_b128 v240, v[10:13] offset:14400
	v_add_co_u32_e32 v10, vcc, s24, v128
	global_load_dwordx4 v[2:5], v[6:7], off
	s_nop 0
	v_addc_co_u32_e32 v11, vcc, 0, v129, vcc
	global_load_dwordx4 v[18:21], v[10:11], off offset:2816
	v_mad_u64_u32 v[6:7], s[10:11], s8, v242, v[6:7]
	v_add_u32_e32 v7, s2, v7
	s_waitcnt vmcnt(0)
	v_mul_f64 v[12:13], v[4:5], v[20:21]
	v_fmac_f64_e32 v[12:13], v[2:3], v[18:19]
	v_mul_f64 v[2:3], v[2:3], v[20:21]
	v_fma_f64 v[14:15], v[4:5], v[18:19], -v[2:3]
	ds_write_b128 v240, v[12:15] offset:19200
	v_add_co_u32_e32 v12, vcc, s3, v128
	scratch_store_dwordx4 off, v[18:21], off offset:124 ; 16-byte Folded Spill
	s_nop 0
	v_addc_co_u32_e32 v13, vcc, 0, v129, vcc
	global_load_dwordx4 v[2:5], v[6:7], off
	global_load_dwordx4 v[20:23], v[12:13], off offset:3520
	s_movk_i32 s3, 0x7000
	v_mad_u64_u32 v[6:7], s[10:11], s8, v242, v[6:7]
	v_add_co_u32_e32 v14, vcc, s3, v128
	v_add_u32_e32 v7, s2, v7
	s_nop 0
	v_addc_co_u32_e32 v15, vcc, 0, v129, vcc
	s_mov_b32 s3, 0x9000
	s_waitcnt vmcnt(0)
	v_mul_f64 v[18:19], v[4:5], v[22:23]
	v_fmac_f64_e32 v[18:19], v[2:3], v[20:21]
	v_mul_f64 v[2:3], v[2:3], v[22:23]
	scratch_store_dwordx4 off, v[20:23], off offset:140 ; 16-byte Folded Spill
	s_nop 1
	v_fma_f64 v[20:21], v[4:5], v[20:21], -v[2:3]
	ds_write_b128 v240, v[18:21] offset:24000
	global_load_dwordx4 v[2:5], v[6:7], off
	global_load_dwordx4 v[20:23], v[14:15], off offset:128
	s_waitcnt vmcnt(0)
	v_mul_f64 v[18:19], v[4:5], v[22:23]
	scratch_store_dwordx4 off, v[20:23], off offset:156 ; 16-byte Folded Spill
	v_fmac_f64_e32 v[18:19], v[2:3], v[20:21]
	v_mul_f64 v[2:3], v[2:3], v[22:23]
	v_mad_u64_u32 v[22:23], s[10:11], s8, v242, v[6:7]
	v_add_co_u32_e32 v6, vcc, s26, v128
	v_add_u32_e32 v23, s2, v23
	s_nop 0
	v_addc_co_u32_e32 v7, vcc, 0, v129, vcc
	v_fma_f64 v[20:21], v[4:5], v[20:21], -v[2:3]
	global_load_dwordx4 v[2:5], v[22:23], off
	global_load_dwordx4 v[24:27], v[6:7], off offset:832
	ds_write_b128 v240, v[18:21] offset:28800
	s_waitcnt vmcnt(0)
	v_mul_f64 v[18:19], v[4:5], v[26:27]
	v_fmac_f64_e32 v[18:19], v[2:3], v[24:25]
	v_mul_f64 v[2:3], v[2:3], v[26:27]
	v_fma_f64 v[20:21], v[4:5], v[24:25], -v[2:3]
	v_mad_u64_u32 v[4:5], s[10:11], s8, v242, v[22:23]
	v_add_co_u32_e32 v2, vcc, s3, v128
	v_add_u32_e32 v5, s2, v5
	s_nop 0
	v_addc_co_u32_e32 v3, vcc, 0, v129, vcc
	scratch_store_dwordx4 off, v[24:27], off offset:172 ; 16-byte Folded Spill
	ds_write_b128 v240, v[18:21] offset:33600
	global_load_dwordx4 v[18:21], v[4:5], off
	global_load_dwordx4 v[24:27], v[2:3], off offset:1536
	s_mov_b32 s3, 0xa000
                                        ; kill: killed $vgpr2 killed $vgpr3
	s_waitcnt vmcnt(0)
	v_mul_f64 v[22:23], v[20:21], v[26:27]
	scratch_store_dwordx4 off, v[24:27], off offset:188 ; 16-byte Folded Spill
	v_fmac_f64_e32 v[22:23], v[18:19], v[24:25]
	v_mul_f64 v[18:19], v[18:19], v[26:27]
	v_mad_u64_u32 v[26:27], s[10:11], s8, v242, v[4:5]
	v_add_co_u32_e32 v4, vcc, s3, v128
	v_add_u32_e32 v27, s2, v27
	s_nop 0
	v_addc_co_u32_e32 v5, vcc, 0, v129, vcc
	v_fma_f64 v[24:25], v[20:21], v[24:25], -v[18:19]
	global_load_dwordx4 v[18:21], v[26:27], off
	global_load_dwordx4 v[28:31], v[4:5], off offset:2240
	ds_write_b128 v240, v[22:25] offset:38400
	s_mov_b64 s[10:11], 0x64
	s_mul_i32 s3, s9, 0xffff5d80
	v_lshl_add_u64 v[132:133], v[156:157], 0, s[10:11]
	s_sub_i32 s3, s3, s8
	s_movk_i32 s9, 0x6000
	s_waitcnt vmcnt(0)
	v_mul_f64 v[22:23], v[20:21], v[30:31]
	v_fmac_f64_e32 v[22:23], v[18:19], v[28:29]
	v_mul_f64 v[18:19], v[18:19], v[30:31]
	v_fma_f64 v[24:25], v[20:21], v[28:29], -v[18:19]
	v_mov_b32_e32 v18, 0xffff5d80
	v_mad_u64_u32 v[26:27], s[10:11], s8, v18, v[26:27]
	scratch_store_dwordx4 off, v[28:31], off offset:204 ; 16-byte Folded Spill
	ds_write_b128 v240, v[22:25] offset:43200
	v_add_u32_e32 v27, s3, v27
	global_load_dwordx4 v[18:21], v[26:27], off
	global_load_dwordx4 v[30:33], v240, s[4:5] offset:1600
	s_mov_b64 s[10:11], 0x190
	v_lshl_add_u64 v[144:145], v[156:157], 0, s[10:11]
	v_mad_u64_u32 v[26:27], s[10:11], s8, v242, v[26:27]
	v_add_u32_e32 v27, s2, v27
	s_mov_b64 s[10:11], 0x2bc
	v_lshl_add_u64 v[142:143], v[156:157], 0, s[10:11]
	v_mov_b32_e32 v28, 0xffff5d80
	s_waitcnt vmcnt(0)
	v_mul_f64 v[22:23], v[20:21], v[32:33]
	v_fmac_f64_e32 v[22:23], v[18:19], v[30:31]
	v_mul_f64 v[18:19], v[18:19], v[32:33]
	v_fma_f64 v[24:25], v[20:21], v[30:31], -v[18:19]
	scratch_store_dwordx4 off, v[30:33], off offset:220 ; 16-byte Folded Spill
	ds_write_b128 v240, v[22:25] offset:1600
	global_load_dwordx4 v[18:21], v[26:27], off
	global_load_dwordx4 v[30:33], v[8:9], off offset:2304
	v_mad_u64_u32 v[26:27], s[10:11], s8, v242, v[26:27]
	v_add_u32_e32 v27, s2, v27
	s_waitcnt vmcnt(0)
	v_mul_f64 v[22:23], v[20:21], v[32:33]
	v_fmac_f64_e32 v[22:23], v[18:19], v[30:31]
	v_mul_f64 v[18:19], v[18:19], v[32:33]
	v_fma_f64 v[24:25], v[20:21], v[30:31], -v[18:19]
	scratch_store_dwordx4 off, v[30:33], off offset:236 ; 16-byte Folded Spill
	ds_write_b128 v240, v[22:25] offset:6400
	global_load_dwordx4 v[18:21], v[26:27], off
	global_load_dwordx4 v[30:33], v[0:1], off offset:3008
	s_waitcnt vmcnt(0)
	v_mul_f64 v[22:23], v[20:21], v[32:33]
	v_mul_f64 v[0:1], v[18:19], v[32:33]
	v_fmac_f64_e32 v[22:23], v[18:19], v[30:31]
	v_fma_f64 v[24:25], v[20:21], v[30:31], -v[0:1]
	v_mad_u64_u32 v[0:1], s[10:11], s8, v242, v[26:27]
	ds_write_b128 v240, v[22:25] offset:11200
	v_add_u32_e32 v1, s2, v1
	global_load_dwordx4 v[18:21], v[0:1], off
	global_load_dwordx4 v[24:27], v[16:17], off offset:3712
	v_mad_u64_u32 v[0:1], s[10:11], s8, v242, v[0:1]
	v_add_u32_e32 v1, s2, v1
	v_accvgpr_write_b32 a87, v33
	v_accvgpr_write_b32 a86, v32
	;; [unrolled: 1-line block ×4, first 2 shown]
	s_waitcnt vmcnt(0)
	v_mul_f64 v[22:23], v[20:21], v[26:27]
	v_fmac_f64_e32 v[22:23], v[18:19], v[24:25]
	v_mul_f64 v[18:19], v[18:19], v[26:27]
	scratch_store_dwordx4 off, v[24:27], off offset:316 ; 16-byte Folded Spill
	s_nop 1
	v_fma_f64 v[24:25], v[20:21], v[24:25], -v[18:19]
	ds_write_b128 v240, v[22:25] offset:16000
	global_load_dwordx4 v[18:21], v[0:1], off
	global_load_dwordx4 v[24:27], v[12:13], off offset:320
	v_mad_u64_u32 v[0:1], s[10:11], s8, v242, v[0:1]
	v_add_u32_e32 v1, s2, v1
	s_waitcnt vmcnt(0)
	v_mul_f64 v[22:23], v[20:21], v[26:27]
	v_fmac_f64_e32 v[22:23], v[18:19], v[24:25]
	v_mul_f64 v[18:19], v[18:19], v[26:27]
	scratch_store_dwordx4 off, v[24:27], off offset:268 ; 16-byte Folded Spill
	s_nop 1
	v_fma_f64 v[24:25], v[20:21], v[24:25], -v[18:19]
	v_add_co_u32_e32 v18, vcc, s9, v128
	ds_write_b128 v240, v[22:25] offset:20800
	s_nop 0
	v_addc_co_u32_e32 v19, vcc, 0, v129, vcc
	global_load_dwordx4 v[20:23], v[0:1], off
	global_load_dwordx4 v[30:33], v[18:19], off offset:1024
	v_mad_u64_u32 v[0:1], s[10:11], s8, v242, v[0:1]
	v_add_u32_e32 v1, s2, v1
	s_waitcnt vmcnt(0)
	v_mul_f64 v[24:25], v[22:23], v[32:33]
	v_fmac_f64_e32 v[24:25], v[20:21], v[30:31]
	v_mul_f64 v[20:21], v[20:21], v[32:33]
	v_fma_f64 v[26:27], v[22:23], v[30:31], -v[20:21]
	v_accvgpr_write_b32 a91, v33
	ds_write_b128 v240, v[24:27] offset:25600
	v_accvgpr_write_b32 a90, v32
	v_accvgpr_write_b32 a89, v31
	;; [unrolled: 1-line block ×3, first 2 shown]
	global_load_dwordx4 v[20:23], v[0:1], off
	global_load_dwordx4 v[30:33], v[14:15], off offset:1728
	v_mad_u64_u32 v[0:1], s[10:11], s8, v242, v[0:1]
	v_add_u32_e32 v1, s2, v1
	s_waitcnt vmcnt(0)
	v_mul_f64 v[24:25], v[22:23], v[32:33]
	v_fmac_f64_e32 v[24:25], v[20:21], v[30:31]
	v_mul_f64 v[20:21], v[20:21], v[32:33]
	v_fma_f64 v[26:27], v[22:23], v[30:31], -v[20:21]
	scratch_store_dwordx4 off, v[30:33], off offset:332 ; 16-byte Folded Spill
	ds_write_b128 v240, v[24:27] offset:30400
	global_load_dwordx4 v[20:23], v[0:1], off
	global_load_dwordx4 v[30:33], v[6:7], off offset:2432
	s_waitcnt vmcnt(0)
	v_mul_f64 v[24:25], v[22:23], v[32:33]
	v_fmac_f64_e32 v[24:25], v[20:21], v[30:31]
	v_mul_f64 v[20:21], v[20:21], v[32:33]
	v_fma_f64 v[26:27], v[22:23], v[30:31], -v[20:21]
	ds_write_b128 v240, v[24:27] offset:35200
	v_mad_u64_u32 v[24:25], s[10:11], s8, v242, v[0:1]
	scratch_store_dwordx4 off, v[30:33], off offset:284 ; 16-byte Folded Spill
	v_add_u32_e32 v25, s2, v25
	global_load_dwordx4 v[20:23], v[24:25], off
	global_load_dwordx4 v[30:33], v[2:3], off offset:3136
	v_mad_u64_u32 v[24:25], s[10:11], s8, v242, v[24:25]
	v_add_u32_e32 v25, s2, v25
	s_mov_b64 s[10:11], 0xc8
	v_lshl_add_u64 v[134:135], v[156:157], 0, s[10:11]
	s_waitcnt vmcnt(0)
	v_mul_f64 v[0:1], v[22:23], v[32:33]
	v_mul_f64 v[2:3], v[20:21], v[32:33]
	v_fmac_f64_e32 v[0:1], v[20:21], v[30:31]
	v_fma_f64 v[2:3], v[22:23], v[30:31], -v[2:3]
	scratch_store_dwordx4 off, v[30:33], off offset:300 ; 16-byte Folded Spill
	ds_write_b128 v240, v[0:3] offset:40000
	global_load_dwordx4 v[0:3], v[24:25], off
	global_load_dwordx4 v[30:33], v[4:5], off offset:3840
	v_mad_u64_u32 v[24:25], s[10:11], s8, v28, v[24:25]
	v_add_u32_e32 v25, s3, v25
	s_mov_b32 s11, 0xbfee6f0e
	s_waitcnt vmcnt(0)
	v_mul_f64 v[20:21], v[2:3], v[32:33]
	v_fmac_f64_e32 v[20:21], v[0:1], v[30:31]
	v_mul_f64 v[0:1], v[0:1], v[32:33]
	v_fma_f64 v[22:23], v[2:3], v[30:31], -v[0:1]
	scratch_store_dwordx4 off, v[30:33], off offset:252 ; 16-byte Folded Spill
	ds_write_b128 v240, v[20:23] offset:44800
	global_load_dwordx4 v[0:3], v[24:25], off
	global_load_dwordx4 v[26:29], v240, s[4:5] offset:3200
	s_mov_b64 s[4:5], 0x1f4
	v_lshl_add_u64 v[146:147], v[156:157], 0, s[4:5]
	s_waitcnt vmcnt(0)
	v_mul_f64 v[20:21], v[2:3], v[28:29]
	v_fmac_f64_e32 v[20:21], v[0:1], v[26:27]
	v_mul_f64 v[0:1], v[0:1], v[28:29]
	v_fma_f64 v[22:23], v[2:3], v[26:27], -v[0:1]
	ds_write_b128 v240, v[20:23] offset:3200
	v_mad_u64_u32 v[20:21], s[4:5], s8, v242, v[24:25]
	v_accvgpr_write_b32 a211, v29
	v_add_u32_e32 v21, s2, v21
	v_accvgpr_write_b32 a210, v28
	v_accvgpr_write_b32 a209, v27
	;; [unrolled: 1-line block ×3, first 2 shown]
	global_load_dwordx4 v[0:3], v[20:21], off
	global_load_dwordx4 v[26:29], v[8:9], off offset:3904
	s_mov_b64 s[4:5], 0x320
	v_lshl_add_u64 v[148:149], v[156:157], 0, s[4:5]
	v_mad_u64_u32 v[8:9], s[4:5], s8, v242, v[20:21]
	v_add_u32_e32 v9, s2, v9
	s_waitcnt vmcnt(0)
	v_mul_f64 v[22:23], v[2:3], v[28:29]
	v_fmac_f64_e32 v[22:23], v[0:1], v[26:27]
	v_mul_f64 v[0:1], v[0:1], v[28:29]
	v_fma_f64 v[24:25], v[2:3], v[26:27], -v[0:1]
	v_accvgpr_write_b32 a95, v29
	ds_write_b128 v240, v[22:25] offset:8000
	v_accvgpr_write_b32 a94, v28
	v_accvgpr_write_b32 a93, v27
	;; [unrolled: 1-line block ×3, first 2 shown]
	global_load_dwordx4 v[0:3], v[8:9], off
	global_load_dwordx4 v[24:27], v[16:17], off offset:512
	v_mad_u64_u32 v[16:17], s[4:5], s8, v242, v[8:9]
	v_add_u32_e32 v17, s2, v17
	s_waitcnt vmcnt(0)
	v_mul_f64 v[20:21], v[2:3], v[26:27]
	v_fmac_f64_e32 v[20:21], v[0:1], v[24:25]
	v_mul_f64 v[0:1], v[0:1], v[26:27]
	v_fma_f64 v[22:23], v[2:3], v[24:25], -v[0:1]
	ds_write_b128 v240, v[20:23] offset:12800
	global_load_dwordx4 v[0:3], v[16:17], off
	global_load_dwordx4 v[20:23], v[10:11], off offset:1216
	v_mad_u64_u32 v[16:17], s[4:5], s8, v242, v[16:17]
	v_add_u32_e32 v17, s2, v17
	v_accvgpr_write_b32 a99, v27
	v_accvgpr_write_b32 a98, v26
	;; [unrolled: 1-line block ×4, first 2 shown]
	s_waitcnt vmcnt(0)
	v_mul_f64 v[8:9], v[2:3], v[22:23]
	v_fmac_f64_e32 v[8:9], v[0:1], v[20:21]
	v_mul_f64 v[0:1], v[0:1], v[22:23]
	v_fma_f64 v[10:11], v[2:3], v[20:21], -v[0:1]
	v_accvgpr_write_b32 a115, v23
	ds_write_b128 v240, v[8:11] offset:17600
	v_accvgpr_write_b32 a114, v22
	v_accvgpr_write_b32 a113, v21
	;; [unrolled: 1-line block ×3, first 2 shown]
	global_load_dwordx4 v[0:3], v[16:17], off
	global_load_dwordx4 v[20:23], v[12:13], off offset:1920
	v_mad_u64_u32 v[12:13], s[4:5], s8, v242, v[16:17]
	v_add_u32_e32 v13, s2, v13
	s_waitcnt vmcnt(0)
	v_mul_f64 v[8:9], v[2:3], v[22:23]
	v_fmac_f64_e32 v[8:9], v[0:1], v[20:21]
	v_mul_f64 v[0:1], v[0:1], v[22:23]
	v_fma_f64 v[10:11], v[2:3], v[20:21], -v[0:1]
	ds_write_b128 v240, v[8:11] offset:22400
	global_load_dwordx4 v[0:3], v[12:13], off
	s_nop 0
	global_load_dwordx4 v[16:19], v[18:19], off offset:2624
	v_mad_u64_u32 v[12:13], s[4:5], s8, v242, v[12:13]
	v_add_u32_e32 v13, s2, v13
	v_accvgpr_write_b32 a111, v23
	v_accvgpr_write_b32 a110, v22
	;; [unrolled: 1-line block ×4, first 2 shown]
	s_waitcnt vmcnt(0)
	v_mul_f64 v[8:9], v[2:3], v[18:19]
	v_fmac_f64_e32 v[8:9], v[0:1], v[16:17]
	v_mul_f64 v[0:1], v[0:1], v[18:19]
	v_fma_f64 v[10:11], v[2:3], v[16:17], -v[0:1]
	v_accvgpr_write_b32 a107, v19
	ds_write_b128 v240, v[8:11] offset:27200
	v_accvgpr_write_b32 a106, v18
	v_accvgpr_write_b32 a105, v17
	;; [unrolled: 1-line block ×3, first 2 shown]
	global_load_dwordx4 v[0:3], v[12:13], off
	s_nop 0
	global_load_dwordx4 v[14:17], v[14:15], off offset:3328
	s_waitcnt vmcnt(0)
	v_mul_f64 v[8:9], v[2:3], v[16:17]
	v_fmac_f64_e32 v[8:9], v[0:1], v[14:15]
	v_mul_f64 v[0:1], v[0:1], v[16:17]
	v_fma_f64 v[10:11], v[2:3], v[14:15], -v[0:1]
	v_mad_u64_u32 v[0:1], s[4:5], s8, v242, v[12:13]
	v_accvgpr_write_b32 a103, v17
	ds_write_b128 v240, v[8:11] offset:32000
	v_add_u32_e32 v1, s2, v1
	v_accvgpr_write_b32 a102, v16
	v_accvgpr_write_b32 a101, v15
	;; [unrolled: 1-line block ×3, first 2 shown]
	global_load_dwordx4 v[8:11], v[0:1], off
	global_load_dwordx4 v[12:15], v[6:7], off offset:4032
	s_waitcnt vmcnt(0)
	v_mul_f64 v[6:7], v[10:11], v[14:15]
	v_mul_f64 v[2:3], v[8:9], v[14:15]
	v_fmac_f64_e32 v[6:7], v[8:9], v[12:13]
	v_fma_f64 v[8:9], v[10:11], v[12:13], -v[2:3]
	ds_write_b128 v240, v[6:9] offset:36800
	v_mad_u64_u32 v[8:9], s[4:5], s8, v242, v[0:1]
	v_accvgpr_write_b32 a119, v15
	v_add_u32_e32 v9, s2, v9
	v_accvgpr_write_b32 a118, v14
	v_accvgpr_write_b32 a117, v13
	v_accvgpr_write_b32 a116, v12
	global_load_dwordx4 v[0:3], v[8:9], off
	global_load_dwordx4 v[10:13], v[4:5], off offset:640
	s_waitcnt vmcnt(0)
	v_mul_f64 v[4:5], v[2:3], v[12:13]
	v_fmac_f64_e32 v[4:5], v[0:1], v[10:11]
	v_mul_f64 v[0:1], v[0:1], v[12:13]
	v_fma_f64 v[6:7], v[2:3], v[10:11], -v[0:1]
	v_mad_u64_u32 v[0:1], s[4:5], s8, v242, v[8:9]
	v_add_u32_e32 v1, s2, v1
	s_mov_b32 s2, 0xb000
	v_add_co_u32_e32 v230, vcc, s2, v128
	ds_write_b128 v240, v[4:7] offset:41600
	s_nop 0
	v_addc_co_u32_e32 v231, vcc, 0, v129, vcc
	global_load_dwordx4 v[4:7], v[230:231], off offset:1344
	v_accvgpr_write_b32 a123, v13
	global_load_dwordx4 v[0:3], v[0:1], off
	v_accvgpr_write_b32 a122, v12
	v_accvgpr_write_b32 a121, v11
	;; [unrolled: 1-line block ×3, first 2 shown]
	s_mov_b32 s4, 0x134454ff
	s_mov_b32 s5, 0x3fee6f0e
	;; [unrolled: 1-line block ×9, first 2 shown]
	s_waitcnt vmcnt(1)
	v_mov_b64_e32 v[8:9], v[6:7]
	v_mov_b64_e32 v[6:7], v[4:5]
	s_waitcnt vmcnt(0)
	v_mul_f64 v[4:5], v[2:3], v[8:9]
	v_fmac_f64_e32 v[4:5], v[0:1], v[6:7]
	v_mul_f64 v[0:1], v[0:1], v[8:9]
	scratch_store_dwordx4 off, v[6:9], off offset:60 ; 16-byte Folded Spill
	s_nop 1
	v_fma_f64 v[6:7], v[2:3], v[6:7], -v[0:1]
	ds_write_b128 v240, v[4:7] offset:46400
	s_waitcnt lgkmcnt(0)
	s_barrier
	ds_read_b128 v[32:35], v240
	ds_read_b128 v[18:21], v240 offset:4800
	ds_read_b128 v[22:25], v240 offset:9600
	;; [unrolled: 1-line block ×29, first 2 shown]
	s_waitcnt lgkmcnt(14)
	v_add_f64 v[16:17], v[32:33], v[22:23]
	v_add_f64 v[16:17], v[16:17], v[26:27]
	;; [unrolled: 1-line block ×5, first 2 shown]
	v_fma_f64 v[30:31], -0.5, v[16:17], v[32:33]
	v_add_f64 v[16:17], v[24:25], -v[126:127]
	v_fma_f64 v[94:95], s[4:5], v[16:17], v[30:31]
	v_add_f64 v[130:131], v[28:29], -v[38:39]
	v_add_f64 v[150:151], v[22:23], -v[26:27]
	v_add_f64 v[152:153], v[124:125], -v[36:37]
	v_fmac_f64_e32 v[30:31], s[10:11], v[16:17]
	v_fmac_f64_e32 v[94:95], s[2:3], v[130:131]
	v_add_f64 v[150:151], v[150:151], v[152:153]
	v_fmac_f64_e32 v[30:31], s[12:13], v[130:131]
	v_fmac_f64_e32 v[94:95], s[8:9], v[150:151]
	v_fmac_f64_e32 v[30:31], s[8:9], v[150:151]
	v_add_f64 v[150:151], v[22:23], v[124:125]
	v_fmac_f64_e32 v[32:33], -0.5, v[150:151]
	v_fma_f64 v[152:153], s[10:11], v[130:131], v[32:33]
	v_fmac_f64_e32 v[32:33], s[4:5], v[130:131]
	v_fmac_f64_e32 v[152:153], s[2:3], v[16:17]
	v_fmac_f64_e32 v[32:33], s[12:13], v[16:17]
	v_add_f64 v[16:17], v[34:35], v[24:25]
	v_add_f64 v[150:151], v[26:27], -v[22:23]
	v_add_f64 v[154:155], v[36:37], -v[124:125]
	v_add_f64 v[16:17], v[16:17], v[28:29]
	v_add_f64 v[150:151], v[150:151], v[154:155]
	v_add_f64 v[16:17], v[16:17], v[38:39]
	v_fmac_f64_e32 v[152:153], s[8:9], v[150:151]
	v_fmac_f64_e32 v[32:33], s[8:9], v[150:151]
	v_add_f64 v[150:151], v[16:17], v[126:127]
	v_add_f64 v[16:17], v[28:29], v[38:39]
	v_fma_f64 v[130:131], -0.5, v[16:17], v[34:35]
	v_add_f64 v[16:17], v[22:23], -v[124:125]
	v_fma_f64 v[22:23], s[10:11], v[16:17], v[130:131]
	v_add_f64 v[26:27], v[26:27], -v[36:37]
	v_add_f64 v[36:37], v[24:25], -v[28:29]
	v_add_f64 v[124:125], v[126:127], -v[38:39]
	v_fmac_f64_e32 v[130:131], s[4:5], v[16:17]
	v_fmac_f64_e32 v[22:23], s[12:13], v[26:27]
	v_add_f64 v[36:37], v[36:37], v[124:125]
	v_fmac_f64_e32 v[130:131], s[2:3], v[26:27]
	v_fmac_f64_e32 v[22:23], s[8:9], v[36:37]
	v_fmac_f64_e32 v[130:131], s[8:9], v[36:37]
	v_add_f64 v[36:37], v[24:25], v[126:127]
	v_fmac_f64_e32 v[34:35], -0.5, v[36:37]
	v_fma_f64 v[124:125], s[4:5], v[26:27], v[34:35]
	v_fmac_f64_e32 v[34:35], s[10:11], v[26:27]
	v_fmac_f64_e32 v[124:125], s[12:13], v[16:17]
	v_fmac_f64_e32 v[34:35], s[2:3], v[16:17]
	v_add_f64 v[16:17], v[18:19], v[0:1]
	v_add_f64 v[24:25], v[28:29], -v[24:25]
	v_add_f64 v[28:29], v[38:39], -v[126:127]
	v_add_f64 v[16:17], v[16:17], v[4:5]
	v_add_f64 v[24:25], v[24:25], v[28:29]
	v_add_f64 v[16:17], v[16:17], v[8:9]
	v_fmac_f64_e32 v[124:125], s[8:9], v[24:25]
	v_fmac_f64_e32 v[34:35], s[8:9], v[24:25]
	v_add_f64 v[24:25], v[16:17], v[12:13]
	v_add_f64 v[16:17], v[4:5], v[8:9]
	;; [unrolled: 28-line block ×3, first 2 shown]
	v_fma_f64 v[36:37], -0.5, v[16:17], v[20:21]
	v_add_f64 v[0:1], v[0:1], -v[12:13]
	v_fma_f64 v[154:155], s[10:11], v[0:1], v[36:37]
	v_add_f64 v[4:5], v[4:5], -v[8:9]
	v_add_f64 v[8:9], v[2:3], -v[6:7]
	;; [unrolled: 1-line block ×3, first 2 shown]
	v_fmac_f64_e32 v[36:37], s[4:5], v[0:1]
	v_fmac_f64_e32 v[154:155], s[12:13], v[4:5]
	v_add_f64 v[8:9], v[8:9], v[12:13]
	v_fmac_f64_e32 v[36:37], s[2:3], v[4:5]
	v_fmac_f64_e32 v[154:155], s[8:9], v[8:9]
	;; [unrolled: 1-line block ×3, first 2 shown]
	v_add_f64 v[8:9], v[2:3], v[14:15]
	v_fmac_f64_e32 v[20:21], -0.5, v[8:9]
	v_fma_f64 v[158:159], s[4:5], v[4:5], v[20:21]
	v_add_f64 v[2:3], v[6:7], -v[2:3]
	v_add_f64 v[6:7], v[10:11], -v[14:15]
	v_fmac_f64_e32 v[158:159], s[12:13], v[0:1]
	v_add_f64 v[2:3], v[2:3], v[6:7]
	v_fmac_f64_e32 v[158:159], s[8:9], v[2:3]
	v_fmac_f64_e32 v[20:21], s[10:11], v[4:5]
	;; [unrolled: 1-line block ×3, first 2 shown]
	v_mul_f64 v[162:163], v[158:159], s[4:5]
	v_fmac_f64_e32 v[20:21], s[8:9], v[2:3]
	v_add_f64 v[8:9], v[80:81], v[24:25]
	v_mul_f64 v[160:161], v[28:29], s[18:19]
	v_fmac_f64_e32 v[162:163], s[8:9], v[126:127]
	v_mul_f64 v[168:169], v[28:29], s[12:13]
	v_mul_f64 v[126:127], v[126:127], s[10:11]
	v_add_f64 v[28:29], v[80:81], -v[24:25]
	v_add_f64 v[80:81], v[96:97], v[86:87]
	v_fmac_f64_e32 v[160:161], s[2:3], v[154:155]
	v_mul_f64 v[164:165], v[18:19], s[16:17]
	v_mul_f64 v[166:167], v[26:27], s[14:15]
	v_fmac_f64_e32 v[168:169], s[18:19], v[154:155]
	v_fmac_f64_e32 v[126:127], s[8:9], v[158:159]
	v_mul_f64 v[154:155], v[20:21], s[16:17]
	v_mul_f64 v[158:159], v[36:37], s[14:15]
	v_add_f64 v[80:81], v[80:81], v[90:91]
	v_fmac_f64_e32 v[164:165], s[4:5], v[20:21]
	v_fmac_f64_e32 v[166:167], s[2:3], v[36:37]
	;; [unrolled: 1-line block ×4, first 2 shown]
	s_waitcnt lgkmcnt(13)
	v_add_f64 v[80:81], v[80:81], v[100:101]
	v_add_f64 v[16:17], v[32:33], v[164:165]
	;; [unrolled: 1-line block ×6, first 2 shown]
	v_add_f64 v[36:37], v[32:33], -v[164:165]
	v_add_f64 v[32:33], v[30:31], -v[166:167]
	;; [unrolled: 1-line block ×5, first 2 shown]
	s_waitcnt lgkmcnt(11)
	v_add_f64 v[130:131], v[80:81], v[120:121]
	v_add_f64 v[80:81], v[90:91], v[100:101]
	;; [unrolled: 1-line block ×3, first 2 shown]
	v_add_f64 v[24:25], v[94:95], -v[160:161]
	v_fma_f64 v[94:95], -0.5, v[80:81], v[96:97]
	v_add_f64 v[80:81], v[88:89], -v[122:123]
	v_add_f64 v[0:1], v[152:153], v[162:163]
	v_add_f64 v[6:7], v[22:23], v[168:169]
	;; [unrolled: 1-line block ×3, first 2 shown]
	v_add_f64 v[20:21], v[152:153], -v[162:163]
	v_add_f64 v[26:27], v[22:23], -v[168:169]
	;; [unrolled: 1-line block ×3, first 2 shown]
	v_fma_f64 v[150:151], s[4:5], v[80:81], v[94:95]
	v_add_f64 v[124:125], v[92:93], -v[102:103]
	v_add_f64 v[126:127], v[86:87], -v[90:91]
	;; [unrolled: 1-line block ×3, first 2 shown]
	v_fmac_f64_e32 v[94:95], s[10:11], v[80:81]
	v_fmac_f64_e32 v[150:151], s[2:3], v[124:125]
	v_add_f64 v[126:127], v[126:127], v[152:153]
	v_fmac_f64_e32 v[94:95], s[12:13], v[124:125]
	v_fmac_f64_e32 v[150:151], s[8:9], v[126:127]
	;; [unrolled: 1-line block ×3, first 2 shown]
	v_add_f64 v[126:127], v[86:87], v[120:121]
	v_fmac_f64_e32 v[96:97], -0.5, v[126:127]
	v_fma_f64 v[152:153], s[10:11], v[124:125], v[96:97]
	v_fmac_f64_e32 v[96:97], s[4:5], v[124:125]
	v_fmac_f64_e32 v[152:153], s[2:3], v[80:81]
	;; [unrolled: 1-line block ×3, first 2 shown]
	v_add_f64 v[80:81], v[98:99], v[88:89]
	v_add_f64 v[126:127], v[90:91], -v[86:87]
	v_add_f64 v[154:155], v[100:101], -v[120:121]
	v_add_f64 v[80:81], v[80:81], v[92:93]
	v_add_f64 v[126:127], v[126:127], v[154:155]
	;; [unrolled: 1-line block ×3, first 2 shown]
	v_fmac_f64_e32 v[152:153], s[8:9], v[126:127]
	v_fmac_f64_e32 v[96:97], s[8:9], v[126:127]
	v_add_f64 v[126:127], v[80:81], v[122:123]
	v_add_f64 v[80:81], v[92:93], v[102:103]
	v_fma_f64 v[124:125], -0.5, v[80:81], v[98:99]
	v_add_f64 v[80:81], v[86:87], -v[120:121]
	v_fma_f64 v[86:87], s[10:11], v[80:81], v[124:125]
	v_add_f64 v[90:91], v[90:91], -v[100:101]
	v_add_f64 v[100:101], v[88:89], -v[92:93]
	;; [unrolled: 1-line block ×3, first 2 shown]
	v_fmac_f64_e32 v[124:125], s[4:5], v[80:81]
	v_fmac_f64_e32 v[86:87], s[12:13], v[90:91]
	v_add_f64 v[100:101], v[100:101], v[120:121]
	v_fmac_f64_e32 v[124:125], s[2:3], v[90:91]
	v_fmac_f64_e32 v[86:87], s[8:9], v[100:101]
	;; [unrolled: 1-line block ×3, first 2 shown]
	v_add_f64 v[100:101], v[88:89], v[122:123]
	v_fmac_f64_e32 v[98:99], -0.5, v[100:101]
	v_fma_f64 v[120:121], s[4:5], v[90:91], v[98:99]
	v_fmac_f64_e32 v[98:99], s[10:11], v[90:91]
	v_fmac_f64_e32 v[120:121], s[12:13], v[80:81]
	;; [unrolled: 1-line block ×3, first 2 shown]
	v_add_f64 v[80:81], v[82:83], v[64:65]
	v_add_f64 v[88:89], v[92:93], -v[88:89]
	v_add_f64 v[92:93], v[102:103], -v[122:123]
	v_add_f64 v[80:81], v[80:81], v[68:69]
	v_add_f64 v[88:89], v[88:89], v[92:93]
	;; [unrolled: 1-line block ×3, first 2 shown]
	v_fmac_f64_e32 v[120:121], s[8:9], v[88:89]
	v_fmac_f64_e32 v[98:99], s[8:9], v[88:89]
	s_waitcnt lgkmcnt(10)
	v_add_f64 v[88:89], v[80:81], v[76:77]
	v_add_f64 v[80:81], v[68:69], v[72:73]
	v_fma_f64 v[90:91], -0.5, v[80:81], v[82:83]
	v_add_f64 v[80:81], v[66:67], -v[78:79]
	v_fma_f64 v[100:101], s[4:5], v[80:81], v[90:91]
	v_add_f64 v[92:93], v[70:71], -v[74:75]
	v_add_f64 v[102:103], v[64:65], -v[68:69]
	;; [unrolled: 1-line block ×3, first 2 shown]
	v_fmac_f64_e32 v[90:91], s[10:11], v[80:81]
	v_fmac_f64_e32 v[100:101], s[2:3], v[92:93]
	v_add_f64 v[102:103], v[102:103], v[122:123]
	v_fmac_f64_e32 v[90:91], s[12:13], v[92:93]
	v_fmac_f64_e32 v[100:101], s[8:9], v[102:103]
	;; [unrolled: 1-line block ×3, first 2 shown]
	v_add_f64 v[102:103], v[64:65], v[76:77]
	v_fmac_f64_e32 v[82:83], -0.5, v[102:103]
	v_fma_f64 v[122:123], s[10:11], v[92:93], v[82:83]
	v_fmac_f64_e32 v[82:83], s[4:5], v[92:93]
	v_fmac_f64_e32 v[122:123], s[2:3], v[80:81]
	;; [unrolled: 1-line block ×3, first 2 shown]
	v_add_f64 v[80:81], v[84:85], v[66:67]
	v_add_f64 v[102:103], v[68:69], -v[64:65]
	v_add_f64 v[154:155], v[72:73], -v[76:77]
	v_add_f64 v[80:81], v[80:81], v[70:71]
	v_add_f64 v[102:103], v[102:103], v[154:155]
	;; [unrolled: 1-line block ×3, first 2 shown]
	v_fmac_f64_e32 v[122:123], s[8:9], v[102:103]
	v_fmac_f64_e32 v[82:83], s[8:9], v[102:103]
	v_add_f64 v[102:103], v[80:81], v[78:79]
	v_add_f64 v[80:81], v[70:71], v[74:75]
	v_fma_f64 v[92:93], -0.5, v[80:81], v[84:85]
	v_add_f64 v[64:65], v[64:65], -v[76:77]
	v_fma_f64 v[154:155], s[10:11], v[64:65], v[92:93]
	v_add_f64 v[68:69], v[68:69], -v[72:73]
	v_add_f64 v[72:73], v[66:67], -v[70:71]
	;; [unrolled: 1-line block ×3, first 2 shown]
	v_fmac_f64_e32 v[92:93], s[4:5], v[64:65]
	v_fmac_f64_e32 v[154:155], s[12:13], v[68:69]
	v_add_f64 v[72:73], v[72:73], v[76:77]
	v_fmac_f64_e32 v[92:93], s[2:3], v[68:69]
	v_fmac_f64_e32 v[154:155], s[8:9], v[72:73]
	;; [unrolled: 1-line block ×3, first 2 shown]
	v_add_f64 v[72:73], v[66:67], v[78:79]
	v_fmac_f64_e32 v[84:85], -0.5, v[72:73]
	v_fma_f64 v[158:159], s[4:5], v[68:69], v[84:85]
	v_add_f64 v[66:67], v[70:71], -v[66:67]
	v_add_f64 v[70:71], v[74:75], -v[78:79]
	v_fmac_f64_e32 v[158:159], s[12:13], v[64:65]
	v_add_f64 v[66:67], v[66:67], v[70:71]
	v_fmac_f64_e32 v[158:159], s[8:9], v[66:67]
	v_mul_f64 v[162:163], v[158:159], s[4:5]
	v_fmac_f64_e32 v[84:85], s[10:11], v[68:69]
	v_fmac_f64_e32 v[162:163], s[8:9], v[122:123]
	v_mul_f64 v[168:169], v[100:101], s[12:13]
	v_mul_f64 v[122:123], v[122:123], s[10:11]
	v_fmac_f64_e32 v[84:85], s[2:3], v[64:65]
	v_fmac_f64_e32 v[168:169], s[18:19], v[154:155]
	v_fmac_f64_e32 v[122:123], s[8:9], v[158:159]
	v_mul_f64 v[158:159], v[92:93], s[14:15]
	v_fmac_f64_e32 v[84:85], s[8:9], v[66:67]
	v_mul_f64 v[166:167], v[90:91], s[14:15]
	v_add_f64 v[70:71], v[86:87], v[168:169]
	v_add_f64 v[66:67], v[120:121], v[122:123]
	v_fmac_f64_e32 v[158:159], s[12:13], v[90:91]
	v_add_f64 v[90:91], v[86:87], -v[168:169]
	v_add_f64 v[86:87], v[120:121], -v[122:123]
	s_waitcnt lgkmcnt(7)
	v_add_f64 v[120:121], v[40:41], v[104:105]
	v_mul_f64 v[160:161], v[100:101], s[18:19]
	s_waitcnt lgkmcnt(5)
	v_add_f64 v[120:121], v[120:121], v[108:109]
	v_fmac_f64_e32 v[160:161], s[2:3], v[154:155]
	v_mul_f64 v[164:165], v[82:83], s[16:17]
	v_mul_f64 v[154:155], v[84:85], s[16:17]
	s_waitcnt lgkmcnt(3)
	v_add_f64 v[120:121], v[120:121], v[112:113]
	v_add_f64 v[72:73], v[130:131], v[88:89]
	;; [unrolled: 1-line block ×3, first 2 shown]
	v_fmac_f64_e32 v[164:165], s[4:5], v[84:85]
	v_fmac_f64_e32 v[166:167], s[2:3], v[92:93]
	v_fmac_f64_e32 v[154:155], s[10:11], v[82:83]
	v_add_f64 v[92:93], v[130:131], -v[88:89]
	v_add_f64 v[88:89], v[150:151], -v[160:161]
	s_waitcnt lgkmcnt(1)
	v_add_f64 v[150:151], v[120:121], v[116:117]
	v_add_f64 v[120:121], v[108:109], v[112:113]
	;; [unrolled: 1-line block ×7, first 2 shown]
	v_add_f64 v[100:101], v[96:97], -v[164:165]
	v_add_f64 v[96:97], v[94:95], -v[166:167]
	;; [unrolled: 1-line block ×5, first 2 shown]
	v_fma_f64 v[124:125], -0.5, v[120:121], v[40:41]
	v_add_f64 v[120:121], v[106:107], -v[118:119]
	v_add_f64 v[64:65], v[152:153], v[162:163]
	v_add_f64 v[84:85], v[152:153], -v[162:163]
	v_fma_f64 v[152:153], s[4:5], v[120:121], v[124:125]
	v_add_f64 v[122:123], v[110:111], -v[114:115]
	v_add_f64 v[126:127], v[104:105], -v[108:109]
	v_add_f64 v[130:131], v[116:117], -v[112:113]
	v_fmac_f64_e32 v[124:125], s[10:11], v[120:121]
	v_fmac_f64_e32 v[152:153], s[2:3], v[122:123]
	v_add_f64 v[126:127], v[126:127], v[130:131]
	v_fmac_f64_e32 v[124:125], s[12:13], v[122:123]
	v_fmac_f64_e32 v[152:153], s[8:9], v[126:127]
	;; [unrolled: 1-line block ×3, first 2 shown]
	v_add_f64 v[126:127], v[104:105], v[116:117]
	v_fmac_f64_e32 v[40:41], -0.5, v[126:127]
	v_fma_f64 v[158:159], s[10:11], v[122:123], v[40:41]
	v_fmac_f64_e32 v[40:41], s[4:5], v[122:123]
	v_fmac_f64_e32 v[158:159], s[2:3], v[120:121]
	;; [unrolled: 1-line block ×3, first 2 shown]
	v_add_f64 v[120:121], v[42:43], v[106:107]
	v_add_f64 v[126:127], v[108:109], -v[104:105]
	v_add_f64 v[130:131], v[112:113], -v[116:117]
	v_add_f64 v[120:121], v[120:121], v[110:111]
	v_add_f64 v[126:127], v[126:127], v[130:131]
	;; [unrolled: 1-line block ×3, first 2 shown]
	v_fmac_f64_e32 v[158:159], s[8:9], v[126:127]
	v_fmac_f64_e32 v[40:41], s[8:9], v[126:127]
	v_add_f64 v[126:127], v[120:121], v[118:119]
	v_add_f64 v[120:121], v[110:111], v[114:115]
	v_fma_f64 v[120:121], -0.5, v[120:121], v[42:43]
	v_add_f64 v[104:105], v[104:105], -v[116:117]
	v_fma_f64 v[130:131], s[10:11], v[104:105], v[120:121]
	v_add_f64 v[108:109], v[108:109], -v[112:113]
	v_add_f64 v[112:113], v[106:107], -v[110:111]
	;; [unrolled: 1-line block ×3, first 2 shown]
	v_fmac_f64_e32 v[120:121], s[4:5], v[104:105]
	v_fmac_f64_e32 v[130:131], s[12:13], v[108:109]
	v_add_f64 v[112:113], v[112:113], v[116:117]
	v_fmac_f64_e32 v[120:121], s[2:3], v[108:109]
	v_fmac_f64_e32 v[130:131], s[8:9], v[112:113]
	;; [unrolled: 1-line block ×3, first 2 shown]
	v_add_f64 v[112:113], v[106:107], v[118:119]
	v_fmac_f64_e32 v[42:43], -0.5, v[112:113]
	v_fma_f64 v[154:155], s[4:5], v[108:109], v[42:43]
	v_fmac_f64_e32 v[42:43], s[10:11], v[108:109]
	v_fmac_f64_e32 v[154:155], s[12:13], v[104:105]
	;; [unrolled: 1-line block ×3, first 2 shown]
	v_add_f64 v[104:105], v[44:45], v[48:49]
	v_add_f64 v[104:105], v[104:105], v[52:53]
	;; [unrolled: 1-line block ×3, first 2 shown]
	v_add_f64 v[106:107], v[110:111], -v[106:107]
	v_add_f64 v[110:111], v[114:115], -v[118:119]
	s_waitcnt lgkmcnt(0)
	v_add_f64 v[108:109], v[104:105], v[60:61]
	v_add_f64 v[104:105], v[52:53], v[56:57]
	;; [unrolled: 1-line block ×3, first 2 shown]
	v_fma_f64 v[110:111], -0.5, v[104:105], v[44:45]
	v_add_f64 v[104:105], v[50:51], -v[62:63]
	v_fmac_f64_e32 v[154:155], s[8:9], v[106:107]
	v_fmac_f64_e32 v[42:43], s[8:9], v[106:107]
	v_fma_f64 v[106:107], s[4:5], v[104:105], v[110:111]
	v_add_f64 v[112:113], v[54:55], -v[58:59]
	v_add_f64 v[114:115], v[48:49], -v[52:53]
	;; [unrolled: 1-line block ×3, first 2 shown]
	v_fmac_f64_e32 v[110:111], s[10:11], v[104:105]
	v_fmac_f64_e32 v[106:107], s[2:3], v[112:113]
	v_add_f64 v[114:115], v[114:115], v[116:117]
	v_fmac_f64_e32 v[110:111], s[12:13], v[112:113]
	v_fmac_f64_e32 v[106:107], s[8:9], v[114:115]
	;; [unrolled: 1-line block ×3, first 2 shown]
	v_add_f64 v[114:115], v[48:49], v[60:61]
	v_fmac_f64_e32 v[44:45], -0.5, v[114:115]
	v_fma_f64 v[116:117], s[10:11], v[112:113], v[44:45]
	v_fmac_f64_e32 v[44:45], s[4:5], v[112:113]
	v_fmac_f64_e32 v[116:117], s[2:3], v[104:105]
	v_fmac_f64_e32 v[44:45], s[12:13], v[104:105]
	v_add_f64 v[104:105], v[46:47], v[50:51]
	v_add_f64 v[114:115], v[52:53], -v[48:49]
	v_add_f64 v[118:119], v[56:57], -v[60:61]
	v_add_f64 v[104:105], v[104:105], v[54:55]
	v_add_f64 v[114:115], v[114:115], v[118:119]
	;; [unrolled: 1-line block ×3, first 2 shown]
	v_fmac_f64_e32 v[116:117], s[8:9], v[114:115]
	v_fmac_f64_e32 v[44:45], s[8:9], v[114:115]
	v_add_f64 v[114:115], v[104:105], v[62:63]
	v_add_f64 v[104:105], v[54:55], v[58:59]
	v_fma_f64 v[112:113], -0.5, v[104:105], v[46:47]
	v_add_f64 v[48:49], v[48:49], -v[60:61]
	v_fma_f64 v[118:119], s[10:11], v[48:49], v[112:113]
	v_add_f64 v[52:53], v[52:53], -v[56:57]
	v_add_f64 v[56:57], v[50:51], -v[54:55]
	;; [unrolled: 1-line block ×3, first 2 shown]
	v_fmac_f64_e32 v[112:113], s[4:5], v[48:49]
	v_fmac_f64_e32 v[118:119], s[12:13], v[52:53]
	v_add_f64 v[56:57], v[56:57], v[60:61]
	v_fmac_f64_e32 v[112:113], s[2:3], v[52:53]
	v_fmac_f64_e32 v[118:119], s[8:9], v[56:57]
	;; [unrolled: 1-line block ×3, first 2 shown]
	v_add_f64 v[56:57], v[50:51], v[62:63]
	v_fmac_f64_e32 v[46:47], -0.5, v[56:57]
	v_fma_f64 v[122:123], s[4:5], v[52:53], v[46:47]
	v_add_f64 v[50:51], v[54:55], -v[50:51]
	v_add_f64 v[54:55], v[58:59], -v[62:63]
	v_fmac_f64_e32 v[46:47], s[10:11], v[52:53]
	v_fmac_f64_e32 v[122:123], s[12:13], v[48:49]
	v_add_f64 v[50:51], v[50:51], v[54:55]
	v_fmac_f64_e32 v[46:47], s[2:3], v[48:49]
	v_mul_f64 v[160:161], v[106:107], s[18:19]
	v_mul_f64 v[168:169], v[106:107], s[12:13]
	v_fmac_f64_e32 v[122:123], s[8:9], v[50:51]
	v_fmac_f64_e32 v[46:47], s[8:9], v[50:51]
	;; [unrolled: 1-line block ×4, first 2 shown]
	v_mul_f64 v[118:119], v[116:117], s[10:11]
	v_mul_f64 v[162:163], v[122:123], s[4:5]
	v_fmac_f64_e32 v[118:119], s[8:9], v[122:123]
	v_mul_f64 v[170:171], v[46:47], s[16:17]
	v_mul_f64 v[122:123], v[112:113], s[14:15]
	;; [unrolled: 1-line block ×3, first 2 shown]
	v_fmac_f64_e32 v[170:171], s[10:11], v[44:45]
	v_fmac_f64_e32 v[122:123], s[12:13], v[110:111]
	;; [unrolled: 1-line block ×3, first 2 shown]
	v_add_f64 v[50:51], v[154:155], v[118:119]
	v_add_f64 v[106:107], v[42:43], v[170:171]
	;; [unrolled: 1-line block ×3, first 2 shown]
	v_add_f64 v[46:47], v[154:155], -v[118:119]
	v_add_f64 v[118:119], v[42:43], -v[170:171]
	v_add_f64 v[42:43], v[120:121], -v[122:123]
	v_mul_lo_u16_e32 v120, 10, v156
	v_lshlrev_b32_e32 v245, 4, v120
	v_mul_lo_u16_sdwa v120, v156, s20 dst_sel:DWORD dst_unused:UNUSED_PAD src0_sel:BYTE_0 src1_sel:DWORD
	v_lshrrev_b16_e32 v196, 11, v120
	v_mul_lo_u16_e32 v120, 10, v196
	v_mul_f64 v[166:167], v[110:111], s[14:15]
	s_barrier
	ds_write_b128 v245, v[8:11]
	ds_write_b128 v245, v[4:7] offset:16
	ds_write_b128 v245, v[0:3] offset:32
	;; [unrolled: 1-line block ×9, first 2 shown]
	v_mul_u32_u24_e32 v0, 10, v132
	v_sub_u16_e32 v120, v156, v120
	v_fmac_f64_e32 v[162:163], s[8:9], v[116:117]
	v_fmac_f64_e32 v[166:167], s[2:3], v[112:113]
	v_lshlrev_b32_e32 v244, 4, v0
	v_mul_u32_u24_e32 v0, 10, v134
	v_and_b32_e32 v197, 0xff, v120
	v_add_f64 v[56:57], v[150:151], v[108:109]
	v_add_f64 v[52:53], v[152:153], v[160:161]
	;; [unrolled: 1-line block ×7, first 2 shown]
	v_add_f64 v[112:113], v[150:151], -v[108:109]
	v_add_f64 v[108:109], v[152:153], -v[160:161]
	;; [unrolled: 1-line block ×7, first 2 shown]
	v_lshlrev_b32_e32 v157, 4, v0
	v_lshlrev_b32_e32 v120, 5, v197
	ds_write_b128 v244, v[72:75]
	ds_write_b128 v244, v[68:71] offset:16
	ds_write_b128 v244, v[64:67] offset:32
	;; [unrolled: 1-line block ×9, first 2 shown]
	ds_write_b128 v157, v[56:59]
	ds_write_b128 v157, v[52:55] offset:16
	ds_write_b128 v157, v[48:51] offset:32
	ds_write_b128 v157, v[104:107] offset:48
	ds_write_b128 v157, v[60:63] offset:64
	ds_write_b128 v157, v[112:115] offset:80
	ds_write_b128 v157, v[108:111] offset:96
	ds_write_b128 v157, v[44:47] offset:112
	ds_write_b128 v157, v[116:119] offset:128
	ds_write_b128 v157, v[40:43] offset:144
	s_waitcnt lgkmcnt(0)
	s_barrier
	ds_read_b128 v[36:39], v240
	ds_read_b128 v[116:119], v240 offset:16000
	ds_read_b128 v[112:115], v240 offset:32000
	;; [unrolled: 1-line block ×29, first 2 shown]
	global_load_dwordx4 v[124:127], v120, s[6:7] offset:16
	global_load_dwordx4 v[150:153], v120, s[6:7]
	s_waitcnt vmcnt(0) lgkmcnt(14)
	v_mul_f64 v[120:121], v[118:119], v[152:153]
	v_mul_f64 v[122:123], v[116:117], v[152:153]
	v_accvgpr_write_b32 a128, v150
	v_fma_f64 v[120:121], v[116:117], v[150:151], -v[120:121]
	v_fmac_f64_e32 v[122:123], v[118:119], v[150:151]
	v_accvgpr_write_b32 a129, v151
	v_accvgpr_write_b32 a130, v152
	;; [unrolled: 1-line block ×3, first 2 shown]
	v_mov_b64_e32 v[152:153], v[126:127]
	v_mov_b64_e32 v[150:151], v[124:125]
	v_mul_f64 v[116:117], v[114:115], v[152:153]
	v_fma_f64 v[124:125], v[112:113], v[150:151], -v[116:117]
	v_mul_f64 v[112:113], v[112:113], v[152:153]
	v_fmac_f64_e32 v[112:113], v[114:115], v[150:151]
	v_mul_lo_u16_sdwa v114, v132, s20 dst_sel:DWORD dst_unused:UNUSED_PAD src0_sel:BYTE_0 src1_sel:DWORD
	v_lshrrev_b16_e32 v133, 11, v114
	v_mul_lo_u16_e32 v114, 10, v133
	v_sub_u16_e32 v114, v132, v114
	v_and_b32_e32 v149, 0xff, v114
	v_accvgpr_write_b32 a124, v150
	v_lshlrev_b32_e32 v114, 5, v149
	v_accvgpr_write_b32 a125, v151
	v_accvgpr_write_b32 a126, v152
	;; [unrolled: 1-line block ×3, first 2 shown]
	global_load_dwordx4 v[116:119], v114, s[6:7] offset:16
	global_load_dwordx4 v[150:153], v114, s[6:7]
	s_mov_b32 s20, 0xcccd
	s_waitcnt vmcnt(1)
	v_accvgpr_write_b32 a135, v119
	s_waitcnt vmcnt(0)
	v_mul_f64 v[114:115], v[110:111], v[152:153]
	v_fma_f64 v[126:127], v[108:109], v[150:151], -v[114:115]
	v_mul_f64 v[130:131], v[108:109], v[152:153]
	v_accvgpr_write_b32 a136, v150
	v_mul_f64 v[108:109], v[106:107], v[118:119]
	v_fmac_f64_e32 v[130:131], v[110:111], v[150:151]
	v_accvgpr_write_b32 a137, v151
	v_accvgpr_write_b32 a138, v152
	v_accvgpr_write_b32 a139, v153
	v_fma_f64 v[150:151], v[104:105], v[116:117], -v[108:109]
	v_mul_f64 v[152:153], v[104:105], v[118:119]
	v_mul_u32_u24_sdwa v104, v134, s20 dst_sel:DWORD dst_unused:UNUSED_PAD src0_sel:WORD_0 src1_sel:DWORD
	v_lshrrev_b32_e32 v135, 19, v104
	v_mul_lo_u16_e32 v104, 10, v135
	v_sub_u16_e32 v190, v134, v104
	v_lshlrev_b16_e32 v104, 1, v190
	v_lshlrev_b32_e32 v104, 4, v104
	v_fmac_f64_e32 v[152:153], v[106:107], v[116:117]
	v_accvgpr_write_b32 a134, v118
	v_accvgpr_write_b32 a133, v117
	v_accvgpr_write_b32 a132, v116
	global_load_dwordx4 v[106:109], v104, s[6:7] offset:16
	global_load_dwordx4 v[114:117], v104, s[6:7]
	s_waitcnt vmcnt(1)
	v_mul_f64 v[162:163], v[96:97], v[108:109]
	s_waitcnt vmcnt(0)
	v_mul_f64 v[104:105], v[102:103], v[116:117]
	v_fma_f64 v[154:155], v[100:101], v[114:115], -v[104:105]
	v_mul_f64 v[158:159], v[100:101], v[116:117]
	v_mul_f64 v[100:101], v[98:99], v[108:109]
	v_fma_f64 v[160:161], v[96:97], v[106:107], -v[100:101]
	v_mul_u32_u24_sdwa v96, v140, s20 dst_sel:DWORD dst_unused:UNUSED_PAD src0_sel:WORD_0 src1_sel:DWORD
	v_lshrrev_b32_e32 v137, 19, v96
	v_mul_lo_u16_e32 v96, 10, v137
	v_sub_u16_e32 v191, v140, v96
	v_lshlrev_b16_e32 v96, 1, v191
	v_lshlrev_b32_e32 v96, 4, v96
	v_fmac_f64_e32 v[158:159], v[102:103], v[114:115]
	v_fmac_f64_e32 v[162:163], v[98:99], v[106:107]
	global_load_dwordx4 v[98:101], v96, s[6:7] offset:16
	global_load_dwordx4 v[102:105], v96, s[6:7]
	v_accvgpr_write_b32 a147, v117
	v_accvgpr_write_b32 a146, v116
	v_accvgpr_write_b32 a145, v115
	v_accvgpr_write_b32 a144, v114
	v_accvgpr_write_b32 a143, v109
	v_accvgpr_write_b32 a142, v108
	v_accvgpr_write_b32 a141, v107
	v_accvgpr_write_b32 a140, v106
	s_waitcnt vmcnt(1)
	v_mul_f64 v[168:169], v[88:89], v[100:101]
	s_waitcnt vmcnt(0)
	v_mul_f64 v[96:97], v[94:95], v[104:105]
	v_fma_f64 v[140:141], v[92:93], v[102:103], -v[96:97]
	v_mul_f64 v[164:165], v[92:93], v[104:105]
	v_mul_f64 v[92:93], v[90:91], v[100:101]
	v_fma_f64 v[166:167], v[88:89], v[98:99], -v[92:93]
	v_mul_u32_u24_sdwa v88, v144, s20 dst_sel:DWORD dst_unused:UNUSED_PAD src0_sel:WORD_0 src1_sel:DWORD
	v_lshrrev_b32_e32 v192, 19, v88
	v_mul_lo_u16_e32 v88, 10, v192
	v_sub_u16_e32 v193, v144, v88
	v_lshlrev_b16_e32 v88, 1, v193
	v_lshlrev_b32_e32 v88, 4, v88
	v_fmac_f64_e32 v[164:165], v[94:95], v[102:103]
	v_fmac_f64_e32 v[168:169], v[90:91], v[98:99]
	global_load_dwordx4 v[90:93], v88, s[6:7] offset:16
	global_load_dwordx4 v[94:97], v88, s[6:7]
	v_accvgpr_write_b32 a155, v105
	v_accvgpr_write_b32 a154, v104
	v_accvgpr_write_b32 a153, v103
	v_accvgpr_write_b32 a152, v102
	v_accvgpr_write_b32 a151, v101
	v_accvgpr_write_b32 a150, v100
	v_accvgpr_write_b32 a149, v99
	v_accvgpr_write_b32 a148, v98
	;; [unrolled: 26-line block ×3, first 2 shown]
	s_waitcnt vmcnt(1) lgkmcnt(12)
	v_mul_f64 v[180:181], v[72:73], v[84:85]
	s_waitcnt vmcnt(0)
	v_mul_f64 v[80:81], v[78:79], v[88:89]
	v_fma_f64 v[146:147], v[76:77], v[86:87], -v[80:81]
	v_mul_f64 v[176:177], v[76:77], v[88:89]
	v_mul_f64 v[76:77], v[74:75], v[84:85]
	v_fma_f64 v[178:179], v[72:73], v[82:83], -v[76:77]
	v_mul_u32_u24_sdwa v72, v138, s20 dst_sel:DWORD dst_unused:UNUSED_PAD src0_sel:WORD_0 src1_sel:DWORD
	v_lshrrev_b32_e32 v202, 19, v72
	v_mul_lo_u16_e32 v72, 10, v202
	v_sub_u16_e32 v203, v138, v72
	v_lshlrev_b16_e32 v72, 1, v203
	v_lshlrev_b32_e32 v72, 4, v72
	v_fmac_f64_e32 v[176:177], v[78:79], v[86:87]
	v_fmac_f64_e32 v[180:181], v[74:75], v[82:83]
	global_load_dwordx4 v[74:77], v72, s[6:7] offset:16
	global_load_dwordx4 v[78:81], v72, s[6:7]
	v_accvgpr_write_b32 a167, v89
	v_accvgpr_write_b32 a166, v88
	v_accvgpr_write_b32 a165, v87
	v_accvgpr_write_b32 a164, v86
	v_accvgpr_write_b32 a171, v85
	v_accvgpr_write_b32 a170, v84
	v_accvgpr_write_b32 a169, v83
	v_accvgpr_write_b32 a168, v82
	s_waitcnt vmcnt(1) lgkmcnt(9)
	v_mul_f64 v[186:187], v[64:65], v[76:77]
	s_waitcnt vmcnt(0)
	v_mul_f64 v[72:73], v[70:71], v[80:81]
	v_fma_f64 v[138:139], v[68:69], v[78:79], -v[72:73]
	v_mul_f64 v[182:183], v[68:69], v[80:81]
	v_mul_f64 v[68:69], v[66:67], v[76:77]
	v_fma_f64 v[184:185], v[64:65], v[74:75], -v[68:69]
	v_mul_u32_u24_sdwa v64, v142, s20 dst_sel:DWORD dst_unused:UNUSED_PAD src0_sel:WORD_0 src1_sel:DWORD
	v_lshrrev_b32_e32 v200, 19, v64
	v_mul_lo_u16_e32 v64, 10, v200
	v_sub_u16_e32 v201, v142, v64
	v_lshlrev_b16_e32 v64, 1, v201
	v_lshlrev_b32_e32 v64, 4, v64
	v_fmac_f64_e32 v[182:183], v[70:71], v[78:79]
	v_fmac_f64_e32 v[186:187], v[66:67], v[74:75]
	global_load_dwordx4 v[66:69], v64, s[6:7] offset:16
	global_load_dwordx4 v[70:73], v64, s[6:7]
	v_accvgpr_write_b32 a175, v81
	v_accvgpr_write_b32 a174, v80
	v_accvgpr_write_b32 a173, v79
	v_accvgpr_write_b32 a172, v78
	v_accvgpr_write_b32 a179, v77
	v_accvgpr_write_b32 a178, v76
	v_accvgpr_write_b32 a177, v75
	v_accvgpr_write_b32 a176, v74
	;; [unrolled: 26-line block ×3, first 2 shown]
	s_waitcnt vmcnt(1) lgkmcnt(3)
	v_mul_f64 v[214:215], v[48:49], v[60:61]
	s_waitcnt vmcnt(0)
	v_mul_f64 v[56:57], v[54:55], v[64:65]
	v_fma_f64 v[208:209], v[52:53], v[62:63], -v[56:57]
	v_mul_f64 v[210:211], v[52:53], v[64:65]
	v_mul_f64 v[52:53], v[50:51], v[60:61]
	v_fma_f64 v[212:213], v[48:49], v[58:59], -v[52:53]
	v_mul_u32_u24_sdwa v48, v136, s20 dst_sel:DWORD dst_unused:UNUSED_PAD src0_sel:WORD_0 src1_sel:DWORD
	v_lshrrev_b32_e32 v148, 19, v48
	v_mul_lo_u16_e32 v48, 10, v148
	v_sub_u16_e32 v136, v136, v48
	v_lshlrev_b16_e32 v48, 1, v136
	v_lshlrev_b32_e32 v48, 4, v48
	v_fmac_f64_e32 v[210:211], v[54:55], v[62:63]
	v_fmac_f64_e32 v[214:215], v[50:51], v[58:59]
	global_load_dwordx4 v[50:53], v48, s[6:7] offset:16
	global_load_dwordx4 v[54:57], v48, s[6:7]
	s_mov_b32 s20, 0xe8584caa
	s_mov_b32 s21, 0x3febb67a
	;; [unrolled: 1-line block ×3, first 2 shown]
	v_accvgpr_write_b32 a191, v65
	v_accvgpr_write_b32 a190, v64
	;; [unrolled: 1-line block ×8, first 2 shown]
	s_waitcnt lgkmcnt(0)
	s_barrier
	s_waitcnt vmcnt(1)
	v_mul_f64 v[222:223], v[40:41], v[52:53]
	s_waitcnt vmcnt(0)
	v_mul_f64 v[48:49], v[46:47], v[56:57]
	v_fma_f64 v[216:217], v[44:45], v[54:55], -v[48:49]
	v_mul_f64 v[218:219], v[44:45], v[56:57]
	v_mul_f64 v[44:45], v[42:43], v[52:53]
	v_fma_f64 v[220:221], v[40:41], v[50:51], -v[44:45]
	v_add_f64 v[40:41], v[36:37], v[120:121]
	v_add_f64 v[116:117], v[40:41], v[124:125]
	v_add_f64 v[40:41], v[120:121], v[124:125]
	v_fmac_f64_e32 v[36:37], -0.5, v[40:41]
	v_add_f64 v[40:41], v[122:123], -v[112:113]
	v_fma_f64 v[108:109], s[20:21], v[40:41], v[36:37]
	v_fmac_f64_e32 v[36:37], s[22:23], v[40:41]
	v_add_f64 v[40:41], v[38:39], v[122:123]
	v_add_f64 v[118:119], v[40:41], v[112:113]
	v_add_f64 v[40:41], v[122:123], v[112:113]
	v_fmac_f64_e32 v[38:39], -0.5, v[40:41]
	v_add_f64 v[40:41], v[120:121], -v[124:125]
	v_fma_f64 v[110:111], s[22:23], v[40:41], v[38:39]
	v_fmac_f64_e32 v[38:39], s[20:21], v[40:41]
	;; [unrolled: 7-line block ×14, first 2 shown]
	v_add_f64 v[40:41], v[8:9], v[142:143]
	v_add_f64 v[60:61], v[40:41], v[204:205]
	;; [unrolled: 1-line block ×3, first 2 shown]
	v_accvgpr_write_b32 a199, v57
	v_fmac_f64_e32 v[8:9], -0.5, v[40:41]
	v_add_f64 v[40:41], v[188:189], -v[206:207]
	v_accvgpr_write_b32 a198, v56
	v_accvgpr_write_b32 a197, v55
	;; [unrolled: 1-line block ×3, first 2 shown]
	v_fma_f64 v[56:57], s[20:21], v[40:41], v[8:9]
	v_fmac_f64_e32 v[8:9], s[22:23], v[40:41]
	v_add_f64 v[40:41], v[10:11], v[188:189]
	v_add_f64 v[62:63], v[40:41], v[206:207]
	;; [unrolled: 1-line block ×3, first 2 shown]
	v_fmac_f64_e32 v[10:11], -0.5, v[40:41]
	v_add_f64 v[40:41], v[142:143], -v[204:205]
	v_accvgpr_write_b32 a203, v53
	v_fma_f64 v[58:59], s[22:23], v[40:41], v[10:11]
	v_fmac_f64_e32 v[10:11], s[20:21], v[40:41]
	v_add_f64 v[40:41], v[4:5], v[208:209]
	v_accvgpr_write_b32 a202, v52
	v_accvgpr_write_b32 a201, v51
	;; [unrolled: 1-line block ×3, first 2 shown]
	v_add_f64 v[52:53], v[40:41], v[212:213]
	v_add_f64 v[40:41], v[208:209], v[212:213]
	v_fmac_f64_e32 v[4:5], -0.5, v[40:41]
	v_add_f64 v[40:41], v[210:211], -v[214:215]
	v_fma_f64 v[48:49], s[20:21], v[40:41], v[4:5]
	v_fmac_f64_e32 v[4:5], s[22:23], v[40:41]
	v_add_f64 v[40:41], v[6:7], v[210:211]
	v_fmac_f64_e32 v[218:219], v[46:47], v[54:55]
	v_add_f64 v[54:55], v[40:41], v[214:215]
	v_add_f64 v[40:41], v[210:211], v[214:215]
	v_fmac_f64_e32 v[6:7], -0.5, v[40:41]
	v_add_f64 v[40:41], v[208:209], -v[212:213]
	v_fmac_f64_e32 v[222:223], v[42:43], v[50:51]
	v_fma_f64 v[50:51], s[22:23], v[40:41], v[6:7]
	v_fmac_f64_e32 v[6:7], s[20:21], v[40:41]
	v_add_f64 v[40:41], v[0:1], v[216:217]
	v_add_f64 v[44:45], v[40:41], v[220:221]
	;; [unrolled: 1-line block ×3, first 2 shown]
	v_fmac_f64_e32 v[0:1], -0.5, v[40:41]
	v_add_f64 v[42:43], v[218:219], -v[222:223]
	v_fma_f64 v[40:41], s[20:21], v[42:43], v[0:1]
	v_fmac_f64_e32 v[0:1], s[22:23], v[42:43]
	v_add_f64 v[42:43], v[2:3], v[218:219]
	v_add_f64 v[46:47], v[42:43], v[222:223]
	;; [unrolled: 1-line block ×3, first 2 shown]
	v_fmac_f64_e32 v[2:3], -0.5, v[42:43]
	v_add_f64 v[120:121], v[216:217], -v[220:221]
	v_fma_f64 v[42:43], s[22:23], v[120:121], v[2:3]
	v_fmac_f64_e32 v[2:3], s[20:21], v[120:121]
	v_mul_u32_u24_e32 v120, 30, v196
	v_add_lshl_u32 v120, v120, v197, 4
	ds_write_b128 v120, v[116:119]
	scratch_store_dword off, v120, off offset:12 ; 4-byte Folded Spill
	ds_write_b128 v120, v[108:111] offset:160
	ds_write_b128 v120, v[36:39] offset:320
	v_mul_u32_u24_e32 v36, 30, v133
	v_add_lshl_u32 v36, v36, v149, 4
	ds_write_b128 v36, v[112:115]
	scratch_store_dword off, v36, off       ; 4-byte Folded Spill
	ds_write_b128 v36, v[104:107] offset:160
	ds_write_b128 v36, v[32:35] offset:320
	v_mad_legacy_u16 v32, v135, 30, v190
	v_lshlrev_b32_e32 v32, 4, v32
	ds_write_b128 v32, v[100:103]
	scratch_store_dword off, v32, off offset:4 ; 4-byte Folded Spill
	ds_write_b128 v32, v[96:99] offset:160
	ds_write_b128 v32, v[28:31] offset:320
	v_mad_legacy_u16 v28, v137, 30, v191
	v_lshlrev_b32_e32 v28, 4, v28
	ds_write_b128 v28, v[92:95]
	scratch_store_dword off, v28, off offset:8 ; 4-byte Folded Spill
	;; [unrolled: 6-line block ×5, first 2 shown]
	ds_write_b128 v16, v[64:67] offset:160
	ds_write_b128 v16, v[12:15] offset:320
	v_mad_legacy_u16 v12, v200, 30, v201
	v_mul_lo_u16_sdwa v120, v156, s28 dst_sel:DWORD dst_unused:UNUSED_PAD src0_sel:BYTE_0 src1_sel:DWORD
	v_lshlrev_b32_e32 v249, 4, v12
	v_lshrrev_b16_e32 v170, 12, v120
	ds_write_b128 v249, v[60:63]
	ds_write_b128 v249, v[56:59] offset:160
	ds_write_b128 v249, v[8:11] offset:320
	v_mad_legacy_u16 v8, v198, 30, v199
	v_mul_lo_u16_e32 v120, 30, v170
	v_lshlrev_b32_e32 v248, 4, v8
	v_sub_u16_e32 v120, v156, v120
	ds_write_b128 v248, v[52:55]
	ds_write_b128 v248, v[48:51] offset:160
	ds_write_b128 v248, v[4:7] offset:320
	v_mad_legacy_u16 v4, v148, 30, v136
	v_and_b32_e32 v171, 0xff, v120
	v_mov_b64_e32 v[120:121], s[6:7]
	v_lshlrev_b32_e32 v243, 4, v4
	v_mad_u64_u32 v[122:123], s[30:31], v171, s27, v[120:121]
	ds_write_b128 v243, v[44:47]
	ds_write_b128 v243, v[40:43] offset:160
	ds_write_b128 v243, v[0:3] offset:320
	s_waitcnt lgkmcnt(0)
	s_barrier
	ds_read_b128 v[40:43], v240
	ds_read_b128 v[116:119], v240 offset:4800
	ds_read_b128 v[112:115], v240 offset:9600
	;; [unrolled: 1-line block ×29, first 2 shown]
	global_load_dwordx4 v[142:145], v[122:123], off offset:368
	global_load_dwordx4 v[138:141], v[122:123], off offset:352
	;; [unrolled: 1-line block ×4, first 2 shown]
	s_waitcnt vmcnt(3) lgkmcnt(14)
	v_mul_f64 v[154:155], v[104:105], v[144:145]
	v_accvgpr_write_b32 a227, v145
	v_fmac_f64_e32 v[154:155], v[106:107], v[142:143]
	s_waitcnt vmcnt(0)
	v_mul_f64 v[124:125], v[118:119], v[152:153]
	v_accvgpr_write_b32 a215, v153
	v_fma_f64 v[126:127], v[116:117], v[150:151], -v[124:125]
	v_mul_f64 v[136:137], v[116:117], v[152:153]
	v_accvgpr_write_b32 a214, v152
	v_accvgpr_write_b32 a213, v151
	;; [unrolled: 1-line block ×3, first 2 shown]
	v_mul_f64 v[116:117], v[114:115], v[148:149]
	v_mul_f64 v[152:153], v[112:113], v[148:149]
	v_fma_f64 v[158:159], v[112:113], v[146:147], -v[116:117]
	v_fmac_f64_e32 v[152:153], v[114:115], v[146:147]
	v_mov_b64_e32 v[114:115], v[138:139]
	v_mov_b64_e32 v[116:117], v[140:141]
	v_mul_f64 v[112:113], v[110:111], v[116:117]
	v_fma_f64 v[140:141], v[108:109], v[114:115], -v[112:113]
	v_mul_f64 v[138:139], v[108:109], v[116:117]
	v_accvgpr_write_b32 a223, v117
	v_mul_f64 v[108:109], v[106:107], v[144:145]
	v_fmac_f64_e32 v[138:139], v[110:111], v[114:115]
	v_accvgpr_write_b32 a222, v116
	v_accvgpr_write_b32 a221, v115
	;; [unrolled: 1-line block ×3, first 2 shown]
	v_fma_f64 v[160:161], v[104:105], v[142:143], -v[108:109]
	v_accvgpr_write_b32 a226, v144
	v_accvgpr_write_b32 a225, v143
	;; [unrolled: 1-line block ×3, first 2 shown]
	global_load_dwordx4 v[106:109], v[122:123], off offset:432
	global_load_dwordx4 v[110:113], v[122:123], off offset:416
	;; [unrolled: 1-line block ×4, first 2 shown]
	v_accvgpr_write_b32 a219, v149
	v_accvgpr_write_b32 a218, v148
	v_accvgpr_write_b32 a217, v147
	v_accvgpr_write_b32 a216, v146
	v_fmac_f64_e32 v[136:137], v[118:119], v[150:151]
	s_waitcnt vmcnt(3)
	v_mul_f64 v[164:165], v[88:89], v[108:109]
	v_fmac_f64_e32 v[164:165], v[90:91], v[106:107]
	s_waitcnt vmcnt(1)
	v_mul_f64 v[162:163], v[96:97], v[116:117]
	s_waitcnt vmcnt(0)
	v_mul_f64 v[104:105], v[102:103], v[144:145]
	v_mov_b64_e32 v[146:147], v[144:145]
	v_fma_f64 v[130:131], v[100:101], v[142:143], -v[104:105]
	v_mov_b64_e32 v[144:145], v[142:143]
	v_mul_f64 v[142:143], v[100:101], v[146:147]
	v_mul_f64 v[100:101], v[98:99], v[116:117]
	v_accvgpr_write_b32 a231, v147
	v_fma_f64 v[166:167], v[96:97], v[114:115], -v[100:101]
	v_mul_f64 v[96:97], v[94:95], v[112:113]
	v_fmac_f64_e32 v[142:143], v[102:103], v[144:145]
	v_accvgpr_write_b32 a230, v146
	v_accvgpr_write_b32 a229, v145
	;; [unrolled: 1-line block ×3, first 2 shown]
	v_fma_f64 v[148:149], v[92:93], v[110:111], -v[96:97]
	v_mul_f64 v[144:145], v[92:93], v[112:113]
	v_mul_f64 v[92:93], v[90:91], v[108:109]
	v_fma_f64 v[168:169], v[88:89], v[106:107], -v[92:93]
	global_load_dwordx4 v[90:93], v[122:123], off offset:448
	v_fmac_f64_e32 v[162:163], v[98:99], v[114:115]
	v_fmac_f64_e32 v[144:145], v[94:95], v[110:111]
	v_accvgpr_write_b32 a40, v106
	v_accvgpr_write_b32 a41, v107
	v_accvgpr_write_b32 a42, v108
	v_accvgpr_write_b32 a43, v109
	v_accvgpr_write_b32 a48, v110
	v_accvgpr_write_b32 a49, v111
	v_accvgpr_write_b32 a50, v112
	v_accvgpr_write_b32 a51, v113
	v_accvgpr_write_b32 a64, v114
	v_accvgpr_write_b32 a65, v115
	v_accvgpr_write_b32 a66, v116
	v_accvgpr_write_b32 a67, v117
	s_waitcnt vmcnt(0)
	v_mul_f64 v[88:89], v[86:87], v[92:93]
	v_fma_f64 v[150:151], v[84:85], v[90:91], -v[88:89]
	v_mul_f64 v[146:147], v[84:85], v[92:93]
	v_mul_lo_u16_sdwa v84, v132, s28 dst_sel:DWORD dst_unused:UNUSED_PAD src0_sel:BYTE_0 src1_sel:DWORD
	v_lshrrev_b16_e32 v172, 12, v84
	v_mul_lo_u16_e32 v84, 30, v172
	v_sub_u16_e32 v84, v132, v84
	v_and_b32_e32 v174, 0xff, v84
	v_accvgpr_write_b32 a56, v90
	v_mad_u64_u32 v[84:85], s[28:29], v174, s27, v[120:121]
	v_fmac_f64_e32 v[146:147], v[86:87], v[90:91]
	v_accvgpr_write_b32 a57, v91
	v_accvgpr_write_b32 a58, v92
	;; [unrolled: 1-line block ×3, first 2 shown]
	global_load_dwordx4 v[88:91], v[84:85], off offset:368
	global_load_dwordx4 v[92:95], v[84:85], off offset:352
	;; [unrolled: 1-line block ×4, first 2 shown]
	s_mov_b32 s28, 0x8889
	s_waitcnt vmcnt(3)
	v_accvgpr_write_b32 a44, v88
	s_waitcnt vmcnt(2)
	v_accvgpr_write_b32 a32, v92
	;; [unrolled: 2-line block ×3, first 2 shown]
	s_waitcnt vmcnt(0)
	v_mul_f64 v[86:87], v[82:83], v[102:103]
	v_fma_f64 v[122:123], v[80:81], v[100:101], -v[86:87]
	v_mul_f64 v[80:81], v[80:81], v[102:103]
	v_fmac_f64_e32 v[80:81], v[82:83], v[100:101]
	v_mul_f64 v[82:83], v[78:79], v[98:99]
	v_fma_f64 v[124:125], v[76:77], v[96:97], -v[82:83]
	v_mul_f64 v[82:83], v[76:77], v[98:99]
	v_mul_f64 v[76:77], v[74:75], v[94:95]
	v_fma_f64 v[76:77], v[72:73], v[92:93], -v[76:77]
	v_mul_f64 v[72:73], v[72:73], v[94:95]
	v_fmac_f64_e32 v[72:73], v[74:75], v[92:93]
	v_mul_f64 v[74:75], v[70:71], v[90:91]
	v_accvgpr_write_b32 a24, v100
	v_fmac_f64_e32 v[82:83], v[78:79], v[96:97]
	v_fma_f64 v[78:79], v[68:69], v[88:89], -v[74:75]
	v_mul_f64 v[74:75], v[68:69], v[90:91]
	v_accvgpr_write_b32 a25, v101
	v_accvgpr_write_b32 a26, v102
	;; [unrolled: 1-line block ×9, first 2 shown]
	v_fmac_f64_e32 v[74:75], v[70:71], v[88:89]
	v_accvgpr_write_b32 a45, v89
	v_accvgpr_write_b32 a46, v90
	;; [unrolled: 1-line block ×3, first 2 shown]
	global_load_dwordx4 v[86:89], v[84:85], off offset:432
	global_load_dwordx4 v[90:93], v[84:85], off offset:416
	;; [unrolled: 1-line block ×4, first 2 shown]
	s_waitcnt vmcnt(3)
	v_accvgpr_write_b32 a247, v89
	v_accvgpr_write_b32 a246, v88
	;; [unrolled: 1-line block ×3, first 2 shown]
	s_waitcnt vmcnt(0)
	v_mul_f64 v[68:69], v[66:67], v[100:101]
	v_fma_f64 v[68:69], v[64:65], v[98:99], -v[68:69]
	v_mul_f64 v[64:65], v[64:65], v[100:101]
	v_fmac_f64_e32 v[64:65], v[66:67], v[98:99]
	s_waitcnt lgkmcnt(13)
	v_mul_f64 v[66:67], v[62:63], v[96:97]
	v_fma_f64 v[70:71], v[60:61], v[94:95], -v[66:67]
	v_mul_f64 v[66:67], v[60:61], v[96:97]
	s_waitcnt lgkmcnt(12)
	v_mul_f64 v[60:61], v[58:59], v[92:93]
	v_fma_f64 v[60:61], v[56:57], v[90:91], -v[60:61]
	v_mul_f64 v[56:57], v[56:57], v[92:93]
	v_fmac_f64_e32 v[56:57], v[58:59], v[90:91]
	s_waitcnt lgkmcnt(11)
	v_mul_f64 v[58:59], v[54:55], v[88:89]
	v_fmac_f64_e32 v[66:67], v[62:63], v[94:95]
	v_fma_f64 v[62:63], v[52:53], v[86:87], -v[58:59]
	v_mul_f64 v[58:59], v[52:53], v[88:89]
	v_fmac_f64_e32 v[58:59], v[54:55], v[86:87]
	v_accvgpr_write_b32 a244, v86
	global_load_dwordx4 v[84:87], v[84:85], off offset:448
	v_accvgpr_write_b32 a60, v94
	v_accvgpr_write_b32 a72, v90
	;; [unrolled: 1-line block ×12, first 2 shown]
	s_waitcnt vmcnt(0) lgkmcnt(10)
	v_mul_f64 v[52:53], v[50:51], v[86:87]
	v_fma_f64 v[52:53], v[48:49], v[84:85], -v[52:53]
	v_mul_f64 v[48:49], v[48:49], v[86:87]
	v_fmac_f64_e32 v[48:49], v[50:51], v[84:85]
	v_mul_u32_u24_sdwa v50, v134, s28 dst_sel:DWORD dst_unused:UNUSED_PAD src0_sel:WORD_0 src1_sel:DWORD
	v_lshrrev_b32_e32 v173, 20, v50
	v_mul_lo_u16_e32 v50, 30, v173
	v_sub_u16_e32 v175, v134, v50
	v_mul_lo_u16_e32 v50, 0x90, v175
	v_mov_b32_e32 v51, v241
	v_accvgpr_write_b32 a243, v87
	v_lshl_add_u64 v[50:51], s[6:7], 0, v[50:51]
	v_accvgpr_write_b32 a242, v86
	v_accvgpr_write_b32 a241, v85
	;; [unrolled: 1-line block ×3, first 2 shown]
	global_load_dwordx4 v[86:89], v[50:51], off offset:368
	global_load_dwordx4 v[90:93], v[50:51], off offset:352
	;; [unrolled: 1-line block ×4, first 2 shown]
	s_movk_i32 s6, 0x12c
	s_waitcnt vmcnt(3)
	v_accvgpr_write_b32 a207, v89
	v_accvgpr_write_b32 a206, v88
	;; [unrolled: 1-line block ×3, first 2 shown]
	s_waitcnt vmcnt(0) lgkmcnt(8)
	v_mul_f64 v[54:55], v[46:47], v[106:107]
	v_fma_f64 v[98:99], v[44:45], v[104:105], -v[54:55]
	v_mul_f64 v[102:103], v[44:45], v[106:107]
	s_waitcnt lgkmcnt(7)
	v_mul_f64 v[44:45], v[38:39], v[96:97]
	v_fmac_f64_e32 v[102:103], v[46:47], v[104:105]
	v_fma_f64 v[112:113], v[36:37], v[94:95], -v[44:45]
	v_mov_b64_e32 v[44:45], v[90:91]
	v_accvgpr_write_b32 a52, v104
	v_mov_b64_e32 v[46:47], v[92:93]
	v_accvgpr_write_b32 a53, v105
	v_accvgpr_write_b32 a54, v106
	;; [unrolled: 1-line block ×3, first 2 shown]
	v_mul_f64 v[104:105], v[36:37], v[96:97]
	s_waitcnt lgkmcnt(6)
	v_mul_f64 v[36:37], v[34:35], v[46:47]
	v_fma_f64 v[92:93], v[32:33], v[44:45], -v[36:37]
	v_mul_f64 v[84:85], v[32:33], v[46:47]
	v_accvgpr_write_b32 a83, v47
	s_waitcnt lgkmcnt(5)
	v_mul_f64 v[32:33], v[30:31], v[88:89]
	v_mul_f64 v[106:107], v[28:29], v[88:89]
	v_fmac_f64_e32 v[84:85], v[34:35], v[44:45]
	v_accvgpr_write_b32 a82, v46
	v_accvgpr_write_b32 a81, v45
	;; [unrolled: 1-line block ×3, first 2 shown]
	v_fma_f64 v[114:115], v[28:29], v[86:87], -v[32:33]
	v_fmac_f64_e32 v[106:107], v[30:31], v[86:87]
	v_accvgpr_write_b32 a204, v86
	global_load_dwordx4 v[30:33], v[50:51], off offset:432
	global_load_dwordx4 v[34:37], v[50:51], off offset:416
	global_load_dwordx4 v[44:47], v[50:51], off offset:400
	global_load_dwordx4 v[88:91], v[50:51], off offset:384
	v_accvgpr_write_b32 a68, v94
	v_fmac_f64_e32 v[104:105], v[38:39], v[94:95]
	v_accvgpr_write_b32 a69, v95
	v_accvgpr_write_b32 a70, v96
	;; [unrolled: 1-line block ×3, first 2 shown]
	s_waitcnt vmcnt(3) lgkmcnt(1)
	v_mul_f64 v[110:111], v[8:9], v[32:33]
	v_fmac_f64_e32 v[110:111], v[10:11], v[30:31]
	s_waitcnt vmcnt(1)
	v_mul_f64 v[108:109], v[20:21], v[46:47]
	s_waitcnt vmcnt(0)
	v_mul_f64 v[28:29], v[26:27], v[90:91]
	v_fma_f64 v[94:95], v[24:25], v[88:89], -v[28:29]
	v_mul_f64 v[86:87], v[24:25], v[90:91]
	v_mul_f64 v[24:25], v[22:23], v[46:47]
	v_accvgpr_write_b32 a76, v88
	v_fma_f64 v[116:117], v[20:21], v[44:45], -v[24:25]
	v_mul_f64 v[20:21], v[14:15], v[36:37]
	v_fmac_f64_e32 v[86:87], v[26:27], v[88:89]
	v_accvgpr_write_b32 a77, v89
	v_accvgpr_write_b32 a78, v90
	;; [unrolled: 1-line block ×3, first 2 shown]
	v_fma_f64 v[96:97], v[12:13], v[34:35], -v[20:21]
	v_mul_f64 v[88:89], v[12:13], v[36:37]
	v_mul_f64 v[12:13], v[10:11], v[32:33]
	v_fma_f64 v[118:119], v[8:9], v[30:31], -v[12:13]
	global_load_dwordx4 v[10:13], v[50:51], off offset:448
	v_accvgpr_write_b32 a239, v33
	v_accvgpr_write_b32 a238, v32
	;; [unrolled: 1-line block ×5, first 2 shown]
	v_fmac_f64_e32 v[88:89], v[14:15], v[34:35]
	v_accvgpr_write_b32 a250, v36
	v_accvgpr_write_b32 a249, v35
	;; [unrolled: 1-line block ×7, first 2 shown]
	v_fmac_f64_e32 v[108:109], v[22:23], v[44:45]
	v_add_f64 v[14:15], v[146:147], -v[144:145]
	s_waitcnt lgkmcnt(0)
	s_barrier
	s_waitcnt vmcnt(0)
	v_mul_f64 v[8:9], v[6:7], v[12:13]
	v_fma_f64 v[100:101], v[4:5], v[10:11], -v[8:9]
	v_mul_f64 v[90:91], v[4:5], v[12:13]
	v_add_f64 v[4:5], v[40:41], v[158:159]
	v_add_f64 v[4:5], v[4:5], v[160:161]
	;; [unrolled: 1-line block ×5, first 2 shown]
	v_accvgpr_write_b32 a235, v13
	v_fma_f64 v[30:31], -0.5, v[4:5], v[40:41]
	v_add_f64 v[4:5], v[152:153], -v[164:165]
	v_fmac_f64_e32 v[90:91], v[6:7], v[10:11]
	v_accvgpr_write_b32 a234, v12
	v_accvgpr_write_b32 a233, v11
	;; [unrolled: 1-line block ×3, first 2 shown]
	v_fma_f64 v[32:33], s[4:5], v[4:5], v[30:31]
	v_add_f64 v[6:7], v[154:155], -v[162:163]
	v_add_f64 v[8:9], v[158:159], -v[160:161]
	v_add_f64 v[10:11], v[168:169], -v[166:167]
	v_fmac_f64_e32 v[30:31], s[10:11], v[4:5]
	v_fmac_f64_e32 v[32:33], s[2:3], v[6:7]
	v_add_f64 v[8:9], v[8:9], v[10:11]
	v_fmac_f64_e32 v[30:31], s[12:13], v[6:7]
	v_fmac_f64_e32 v[32:33], s[8:9], v[8:9]
	v_fmac_f64_e32 v[30:31], s[8:9], v[8:9]
	v_add_f64 v[8:9], v[158:159], v[168:169]
	v_fmac_f64_e32 v[40:41], -0.5, v[8:9]
	v_fma_f64 v[38:39], s[10:11], v[6:7], v[40:41]
	v_fmac_f64_e32 v[40:41], s[4:5], v[6:7]
	v_fmac_f64_e32 v[38:39], s[2:3], v[4:5]
	v_fmac_f64_e32 v[40:41], s[12:13], v[4:5]
	v_add_f64 v[4:5], v[42:43], v[152:153]
	v_add_f64 v[4:5], v[4:5], v[154:155]
	v_add_f64 v[4:5], v[4:5], v[162:163]
	v_add_f64 v[8:9], v[160:161], -v[158:159]
	v_add_f64 v[10:11], v[166:167], -v[168:169]
	v_add_f64 v[34:35], v[4:5], v[164:165]
	v_add_f64 v[4:5], v[154:155], v[162:163]
	v_add_f64 v[8:9], v[8:9], v[10:11]
	v_fma_f64 v[50:51], -0.5, v[4:5], v[42:43]
	v_add_f64 v[4:5], v[158:159], -v[168:169]
	v_fmac_f64_e32 v[38:39], s[8:9], v[8:9]
	v_fmac_f64_e32 v[40:41], s[8:9], v[8:9]
	v_fma_f64 v[46:47], s[10:11], v[4:5], v[50:51]
	v_add_f64 v[6:7], v[160:161], -v[166:167]
	v_add_f64 v[8:9], v[152:153], -v[154:155]
	v_add_f64 v[10:11], v[164:165], -v[162:163]
	v_fmac_f64_e32 v[50:51], s[4:5], v[4:5]
	v_fmac_f64_e32 v[46:47], s[12:13], v[6:7]
	v_add_f64 v[8:9], v[8:9], v[10:11]
	v_fmac_f64_e32 v[50:51], s[2:3], v[6:7]
	v_fmac_f64_e32 v[46:47], s[8:9], v[8:9]
	v_fmac_f64_e32 v[50:51], s[8:9], v[8:9]
	v_add_f64 v[8:9], v[152:153], v[164:165]
	v_fmac_f64_e32 v[42:43], -0.5, v[8:9]
	v_fma_f64 v[54:55], s[4:5], v[6:7], v[42:43]
	v_fmac_f64_e32 v[42:43], s[10:11], v[6:7]
	v_fmac_f64_e32 v[54:55], s[12:13], v[4:5]
	v_fmac_f64_e32 v[42:43], s[2:3], v[4:5]
	v_add_f64 v[4:5], v[126:127], v[140:141]
	v_add_f64 v[4:5], v[4:5], v[130:131]
	v_add_f64 v[4:5], v[4:5], v[148:149]
	v_add_f64 v[8:9], v[154:155], -v[152:153]
	v_add_f64 v[10:11], v[162:163], -v[164:165]
	v_add_f64 v[36:37], v[4:5], v[150:151]
	v_add_f64 v[4:5], v[130:131], v[148:149]
	v_add_f64 v[8:9], v[8:9], v[10:11]
	v_fma_f64 v[22:23], -0.5, v[4:5], v[126:127]
	v_add_f64 v[4:5], v[138:139], -v[146:147]
	v_fmac_f64_e32 v[54:55], s[8:9], v[8:9]
	v_fmac_f64_e32 v[42:43], s[8:9], v[8:9]
	;; [unrolled: 28-line block ×3, first 2 shown]
	v_fma_f64 v[10:11], s[10:11], v[4:5], v[44:45]
	v_add_f64 v[8:9], v[130:131], -v[148:149]
	v_add_f64 v[12:13], v[138:139], -v[142:143]
	v_fmac_f64_e32 v[44:45], s[4:5], v[4:5]
	v_fmac_f64_e32 v[10:11], s[12:13], v[8:9]
	v_add_f64 v[12:13], v[12:13], v[14:15]
	v_fmac_f64_e32 v[44:45], s[2:3], v[8:9]
	v_fmac_f64_e32 v[10:11], s[8:9], v[12:13]
	;; [unrolled: 1-line block ×3, first 2 shown]
	v_add_f64 v[12:13], v[138:139], v[146:147]
	v_fmac_f64_e32 v[136:137], -0.5, v[12:13]
	v_fma_f64 v[130:131], s[4:5], v[8:9], v[136:137]
	v_add_f64 v[12:13], v[142:143], -v[138:139]
	v_add_f64 v[14:15], v[144:145], -v[146:147]
	v_fmac_f64_e32 v[136:137], s[10:11], v[8:9]
	v_fmac_f64_e32 v[130:131], s[12:13], v[4:5]
	v_add_f64 v[12:13], v[12:13], v[14:15]
	v_fmac_f64_e32 v[136:137], s[2:3], v[4:5]
	v_fmac_f64_e32 v[130:131], s[8:9], v[12:13]
	;; [unrolled: 1-line block ×3, first 2 shown]
	v_mul_f64 v[146:147], v[26:27], s[10:11]
	v_mul_f64 v[138:139], v[130:131], s[4:5]
	v_fmac_f64_e32 v[146:147], s[8:9], v[130:131]
	v_mul_f64 v[130:131], v[136:137], s[16:17]
	v_mul_f64 v[140:141], v[126:127], s[16:17]
	;; [unrolled: 1-line block ×3, first 2 shown]
	v_fmac_f64_e32 v[130:131], s[10:11], v[126:127]
	v_mul_f64 v[126:127], v[44:45], s[14:15]
	v_fmac_f64_e32 v[138:139], s[8:9], v[26:27]
	v_fmac_f64_e32 v[144:145], s[18:19], v[10:11]
	v_fmac_f64_e32 v[126:127], s[12:13], v[22:23]
	v_add_f64 v[12:13], v[28:29], v[36:37]
	v_mul_f64 v[134:135], v[10:11], s[2:3]
	v_add_f64 v[4:5], v[38:39], v[138:139]
	v_mul_f64 v[142:143], v[22:23], s[14:15]
	v_add_f64 v[14:15], v[34:35], v[132:133]
	v_add_f64 v[10:11], v[46:47], v[144:145]
	;; [unrolled: 1-line block ×4, first 2 shown]
	v_add_f64 v[36:37], v[28:29], -v[36:37]
	v_add_f64 v[28:29], v[38:39], -v[138:139]
	v_add_f64 v[38:39], v[34:35], -v[132:133]
	v_add_f64 v[34:35], v[46:47], -v[144:145]
	v_add_f64 v[46:47], v[42:43], -v[130:131]
	v_add_f64 v[42:43], v[50:51], -v[126:127]
	v_add_f64 v[50:51], v[16:17], v[124:125]
	v_add_f64 v[50:51], v[50:51], v[78:79]
	;; [unrolled: 1-line block ×5, first 2 shown]
	v_fmac_f64_e32 v[134:135], s[18:19], v[6:7]
	v_fmac_f64_e32 v[140:141], s[4:5], v[136:137]
	;; [unrolled: 1-line block ×3, first 2 shown]
	v_fma_f64 v[130:131], -0.5, v[50:51], v[16:17]
	v_add_f64 v[50:51], v[82:83], -v[58:59]
	v_add_f64 v[8:9], v[32:33], v[134:135]
	v_add_f64 v[24:25], v[40:41], v[140:141]
	;; [unrolled: 1-line block ×4, first 2 shown]
	v_add_f64 v[32:33], v[32:33], -v[134:135]
	v_add_f64 v[44:45], v[40:41], -v[140:141]
	;; [unrolled: 1-line block ×4, first 2 shown]
	v_fma_f64 v[132:133], s[4:5], v[50:51], v[130:131]
	v_add_f64 v[54:55], v[74:75], -v[66:67]
	v_add_f64 v[134:135], v[124:125], -v[78:79]
	;; [unrolled: 1-line block ×3, first 2 shown]
	v_fmac_f64_e32 v[130:131], s[10:11], v[50:51]
	v_fmac_f64_e32 v[132:133], s[2:3], v[54:55]
	v_add_f64 v[134:135], v[134:135], v[136:137]
	v_fmac_f64_e32 v[130:131], s[12:13], v[54:55]
	v_fmac_f64_e32 v[132:133], s[8:9], v[134:135]
	;; [unrolled: 1-line block ×3, first 2 shown]
	v_add_f64 v[134:135], v[124:125], v[62:63]
	v_fmac_f64_e32 v[16:17], -0.5, v[134:135]
	v_fma_f64 v[138:139], s[10:11], v[54:55], v[16:17]
	v_fmac_f64_e32 v[16:17], s[4:5], v[54:55]
	v_fmac_f64_e32 v[138:139], s[2:3], v[50:51]
	;; [unrolled: 1-line block ×3, first 2 shown]
	v_add_f64 v[50:51], v[18:19], v[82:83]
	v_add_f64 v[134:135], v[78:79], -v[124:125]
	v_add_f64 v[136:137], v[70:71], -v[62:63]
	v_add_f64 v[50:51], v[50:51], v[74:75]
	v_add_f64 v[134:135], v[134:135], v[136:137]
	;; [unrolled: 1-line block ×3, first 2 shown]
	v_fmac_f64_e32 v[138:139], s[8:9], v[134:135]
	v_fmac_f64_e32 v[16:17], s[8:9], v[134:135]
	v_add_f64 v[134:135], v[50:51], v[58:59]
	v_add_f64 v[50:51], v[74:75], v[66:67]
	v_fma_f64 v[136:137], -0.5, v[50:51], v[18:19]
	v_add_f64 v[50:51], v[124:125], -v[62:63]
	v_fma_f64 v[124:125], s[10:11], v[50:51], v[136:137]
	v_add_f64 v[54:55], v[78:79], -v[70:71]
	v_add_f64 v[62:63], v[82:83], -v[74:75]
	;; [unrolled: 1-line block ×3, first 2 shown]
	v_fmac_f64_e32 v[136:137], s[4:5], v[50:51]
	v_fmac_f64_e32 v[124:125], s[12:13], v[54:55]
	v_add_f64 v[62:63], v[62:63], v[70:71]
	v_fmac_f64_e32 v[136:137], s[2:3], v[54:55]
	v_fmac_f64_e32 v[124:125], s[8:9], v[62:63]
	;; [unrolled: 1-line block ×3, first 2 shown]
	v_add_f64 v[62:63], v[82:83], v[58:59]
	v_fmac_f64_e32 v[18:19], -0.5, v[62:63]
	v_fma_f64 v[70:71], s[4:5], v[54:55], v[18:19]
	v_fmac_f64_e32 v[18:19], s[10:11], v[54:55]
	v_fmac_f64_e32 v[70:71], s[12:13], v[50:51]
	;; [unrolled: 1-line block ×3, first 2 shown]
	v_add_f64 v[50:51], v[122:123], v[76:77]
	v_add_f64 v[50:51], v[50:51], v[68:69]
	;; [unrolled: 1-line block ×3, first 2 shown]
	v_add_f64 v[62:63], v[74:75], -v[82:83]
	v_add_f64 v[58:59], v[66:67], -v[58:59]
	v_add_f64 v[74:75], v[50:51], v[52:53]
	v_add_f64 v[50:51], v[68:69], v[60:61]
	;; [unrolled: 1-line block ×3, first 2 shown]
	v_fma_f64 v[62:63], -0.5, v[50:51], v[122:123]
	v_add_f64 v[50:51], v[72:73], -v[48:49]
	v_fmac_f64_e32 v[70:71], s[8:9], v[58:59]
	v_fmac_f64_e32 v[18:19], s[8:9], v[58:59]
	v_fma_f64 v[54:55], s[4:5], v[50:51], v[62:63]
	v_add_f64 v[58:59], v[64:65], -v[56:57]
	v_add_f64 v[66:67], v[76:77], -v[68:69]
	;; [unrolled: 1-line block ×3, first 2 shown]
	v_fmac_f64_e32 v[62:63], s[10:11], v[50:51]
	v_fmac_f64_e32 v[54:55], s[2:3], v[58:59]
	v_add_f64 v[66:67], v[66:67], v[78:79]
	v_fmac_f64_e32 v[62:63], s[12:13], v[58:59]
	v_fmac_f64_e32 v[54:55], s[8:9], v[66:67]
	v_fmac_f64_e32 v[62:63], s[8:9], v[66:67]
	v_add_f64 v[66:67], v[76:77], v[52:53]
	v_fmac_f64_e32 v[122:123], -0.5, v[66:67]
	v_fma_f64 v[66:67], s[10:11], v[58:59], v[122:123]
	v_fmac_f64_e32 v[122:123], s[4:5], v[58:59]
	v_fmac_f64_e32 v[66:67], s[2:3], v[50:51]
	;; [unrolled: 1-line block ×3, first 2 shown]
	v_add_f64 v[50:51], v[80:81], v[72:73]
	v_add_f64 v[78:79], v[68:69], -v[76:77]
	v_add_f64 v[82:83], v[60:61], -v[52:53]
	v_add_f64 v[50:51], v[50:51], v[64:65]
	v_add_f64 v[78:79], v[78:79], v[82:83]
	;; [unrolled: 1-line block ×3, first 2 shown]
	v_fmac_f64_e32 v[66:67], s[8:9], v[78:79]
	v_fmac_f64_e32 v[122:123], s[8:9], v[78:79]
	v_add_f64 v[78:79], v[50:51], v[48:49]
	v_add_f64 v[50:51], v[64:65], v[56:57]
	v_fma_f64 v[82:83], -0.5, v[50:51], v[80:81]
	v_add_f64 v[50:51], v[76:77], -v[52:53]
	v_fma_f64 v[76:77], s[10:11], v[50:51], v[82:83]
	v_add_f64 v[52:53], v[68:69], -v[60:61]
	v_add_f64 v[58:59], v[72:73], -v[64:65]
	v_add_f64 v[60:61], v[48:49], -v[56:57]
	v_fmac_f64_e32 v[82:83], s[4:5], v[50:51]
	v_fmac_f64_e32 v[76:77], s[12:13], v[52:53]
	v_add_f64 v[58:59], v[58:59], v[60:61]
	v_fmac_f64_e32 v[82:83], s[2:3], v[52:53]
	v_fmac_f64_e32 v[76:77], s[8:9], v[58:59]
	;; [unrolled: 1-line block ×3, first 2 shown]
	v_add_f64 v[58:59], v[72:73], v[48:49]
	v_fmac_f64_e32 v[80:81], -0.5, v[58:59]
	v_fma_f64 v[68:69], s[4:5], v[52:53], v[80:81]
	v_add_f64 v[58:59], v[64:65], -v[72:73]
	v_add_f64 v[48:49], v[56:57], -v[48:49]
	v_fmac_f64_e32 v[80:81], s[10:11], v[52:53]
	v_add_f64 v[48:49], v[58:59], v[48:49]
	v_fmac_f64_e32 v[80:81], s[2:3], v[50:51]
	v_fmac_f64_e32 v[80:81], s[8:9], v[48:49]
	;; [unrolled: 1-line block ×3, first 2 shown]
	v_mul_f64 v[150:151], v[80:81], s[16:17]
	v_fmac_f64_e32 v[68:69], s[8:9], v[48:49]
	v_mul_f64 v[142:143], v[122:123], s[16:17]
	v_fmac_f64_e32 v[150:151], s[10:11], v[122:123]
	v_mul_f64 v[122:123], v[82:83], s[14:15]
	v_mul_f64 v[140:141], v[68:69], s[4:5]
	;; [unrolled: 1-line block ×3, first 2 shown]
	v_fmac_f64_e32 v[122:123], s[12:13], v[62:63]
	v_fmac_f64_e32 v[140:141], s[8:9], v[66:67]
	;; [unrolled: 1-line block ×3, first 2 shown]
	v_mul_f64 v[148:149], v[66:67], s[10:11]
	v_add_f64 v[66:67], v[18:19], v[150:151]
	v_add_f64 v[62:63], v[136:137], v[122:123]
	v_add_f64 v[82:83], v[18:19], -v[150:151]
	v_add_f64 v[18:19], v[136:137], -v[122:123]
	v_add_f64 v[122:123], v[0:1], v[112:113]
	v_add_f64 v[122:123], v[122:123], v[114:115]
	v_mul_f64 v[146:147], v[54:55], s[12:13]
	v_add_f64 v[122:123], v[122:123], v[116:117]
	v_add_f64 v[56:57], v[126:127], v[74:75]
	v_mul_f64 v[72:73], v[76:77], s[2:3]
	v_fmac_f64_e32 v[142:143], s[4:5], v[80:81]
	v_fmac_f64_e32 v[146:147], s[18:19], v[76:77]
	v_add_f64 v[76:77], v[126:127], -v[74:75]
	v_add_f64 v[126:127], v[122:123], v[118:119]
	v_add_f64 v[122:123], v[114:115], v[116:117]
	v_fmac_f64_e32 v[72:73], s[18:19], v[54:55]
	v_add_f64 v[64:65], v[16:17], v[142:143]
	v_add_f64 v[60:61], v[130:131], v[144:145]
	v_add_f64 v[80:81], v[16:17], -v[142:143]
	v_add_f64 v[16:17], v[130:131], -v[144:145]
	v_fma_f64 v[130:131], -0.5, v[122:123], v[0:1]
	v_add_f64 v[122:123], v[104:105], -v[110:111]
	v_add_f64 v[52:53], v[132:133], v[72:73]
	v_add_f64 v[58:59], v[134:135], v[78:79]
	;; [unrolled: 1-line block ×3, first 2 shown]
	v_add_f64 v[72:73], v[132:133], -v[72:73]
	v_add_f64 v[78:79], v[134:135], -v[78:79]
	;; [unrolled: 1-line block ×3, first 2 shown]
	v_fma_f64 v[132:133], s[4:5], v[122:123], v[130:131]
	v_add_f64 v[124:125], v[106:107], -v[108:109]
	v_add_f64 v[134:135], v[112:113], -v[114:115]
	;; [unrolled: 1-line block ×3, first 2 shown]
	v_fmac_f64_e32 v[130:131], s[10:11], v[122:123]
	v_fmac_f64_e32 v[132:133], s[2:3], v[124:125]
	v_add_f64 v[134:135], v[134:135], v[136:137]
	v_fmac_f64_e32 v[130:131], s[12:13], v[124:125]
	v_fmac_f64_e32 v[132:133], s[8:9], v[134:135]
	;; [unrolled: 1-line block ×3, first 2 shown]
	v_add_f64 v[134:135], v[112:113], v[118:119]
	v_fmac_f64_e32 v[0:1], -0.5, v[134:135]
	v_fma_f64 v[136:137], s[10:11], v[124:125], v[0:1]
	v_fmac_f64_e32 v[0:1], s[4:5], v[124:125]
	v_fmac_f64_e32 v[136:137], s[2:3], v[122:123]
	;; [unrolled: 1-line block ×3, first 2 shown]
	v_add_f64 v[122:123], v[2:3], v[104:105]
	v_add_f64 v[48:49], v[138:139], v[140:141]
	v_fmac_f64_e32 v[148:149], s[8:9], v[68:69]
	v_add_f64 v[68:69], v[138:139], -v[140:141]
	v_add_f64 v[134:135], v[114:115], -v[112:113]
	v_add_f64 v[138:139], v[116:117], -v[118:119]
	v_add_f64 v[122:123], v[122:123], v[106:107]
	v_add_f64 v[134:135], v[134:135], v[138:139]
	;; [unrolled: 1-line block ×3, first 2 shown]
	v_fmac_f64_e32 v[136:137], s[8:9], v[134:135]
	v_fmac_f64_e32 v[0:1], s[8:9], v[134:135]
	v_add_f64 v[134:135], v[122:123], v[110:111]
	v_add_f64 v[122:123], v[106:107], v[108:109]
	v_fma_f64 v[122:123], -0.5, v[122:123], v[2:3]
	v_add_f64 v[112:113], v[112:113], -v[118:119]
	v_fma_f64 v[118:119], s[10:11], v[112:113], v[122:123]
	v_add_f64 v[114:115], v[114:115], -v[116:117]
	v_add_f64 v[116:117], v[104:105], -v[106:107]
	;; [unrolled: 1-line block ×3, first 2 shown]
	v_fmac_f64_e32 v[122:123], s[4:5], v[112:113]
	v_fmac_f64_e32 v[118:119], s[12:13], v[114:115]
	v_add_f64 v[116:117], v[116:117], v[124:125]
	v_fmac_f64_e32 v[122:123], s[2:3], v[114:115]
	v_fmac_f64_e32 v[118:119], s[8:9], v[116:117]
	;; [unrolled: 1-line block ×3, first 2 shown]
	v_add_f64 v[116:117], v[104:105], v[110:111]
	v_add_f64 v[104:105], v[106:107], -v[104:105]
	v_add_f64 v[106:107], v[108:109], -v[110:111]
	v_fmac_f64_e32 v[2:3], -0.5, v[116:117]
	v_add_f64 v[104:105], v[104:105], v[106:107]
	v_add_f64 v[106:107], v[94:95], v[96:97]
	v_fma_f64 v[138:139], s[4:5], v[114:115], v[2:3]
	v_fmac_f64_e32 v[2:3], s[10:11], v[114:115]
	v_fma_f64 v[106:107], -0.5, v[106:107], v[98:99]
	v_add_f64 v[108:109], v[84:85], -v[90:91]
	v_fmac_f64_e32 v[138:139], s[12:13], v[112:113]
	v_fmac_f64_e32 v[2:3], s[2:3], v[112:113]
	v_fma_f64 v[112:113], s[4:5], v[108:109], v[106:107]
	v_add_f64 v[110:111], v[86:87], -v[88:89]
	v_add_f64 v[114:115], v[92:93], -v[94:95]
	;; [unrolled: 1-line block ×3, first 2 shown]
	v_fmac_f64_e32 v[106:107], s[10:11], v[108:109]
	v_fmac_f64_e32 v[112:113], s[2:3], v[110:111]
	v_add_f64 v[114:115], v[114:115], v[116:117]
	v_fmac_f64_e32 v[106:107], s[12:13], v[110:111]
	v_fmac_f64_e32 v[112:113], s[8:9], v[114:115]
	;; [unrolled: 1-line block ×3, first 2 shown]
	v_add_f64 v[114:115], v[92:93], v[100:101]
	v_fmac_f64_e32 v[138:139], s[8:9], v[104:105]
	v_fmac_f64_e32 v[2:3], s[8:9], v[104:105]
	v_add_f64 v[104:105], v[98:99], v[92:93]
	v_fmac_f64_e32 v[98:99], -0.5, v[114:115]
	v_fma_f64 v[114:115], s[10:11], v[110:111], v[98:99]
	v_fmac_f64_e32 v[98:99], s[4:5], v[110:111]
	v_fmac_f64_e32 v[114:115], s[2:3], v[108:109]
	;; [unrolled: 1-line block ×3, first 2 shown]
	v_add_f64 v[108:109], v[102:103], v[84:85]
	v_add_f64 v[108:109], v[108:109], v[86:87]
	;; [unrolled: 1-line block ×4, first 2 shown]
	v_add_f64 v[116:117], v[94:95], -v[92:93]
	v_add_f64 v[124:125], v[96:97], -v[100:101]
	v_add_f64 v[110:111], v[108:109], v[90:91]
	v_add_f64 v[108:109], v[86:87], v[88:89]
	;; [unrolled: 1-line block ×4, first 2 shown]
	v_fma_f64 v[108:109], -0.5, v[108:109], v[102:103]
	v_add_f64 v[92:93], v[92:93], -v[100:101]
	v_add_f64 v[104:105], v[104:105], v[100:101]
	v_fmac_f64_e32 v[114:115], s[8:9], v[116:117]
	v_fmac_f64_e32 v[98:99], s[8:9], v[116:117]
	v_fma_f64 v[116:117], s[10:11], v[92:93], v[108:109]
	v_add_f64 v[94:95], v[94:95], -v[96:97]
	v_add_f64 v[96:97], v[84:85], -v[86:87]
	;; [unrolled: 1-line block ×3, first 2 shown]
	v_fmac_f64_e32 v[108:109], s[4:5], v[92:93]
	v_fmac_f64_e32 v[116:117], s[12:13], v[94:95]
	v_add_f64 v[96:97], v[96:97], v[100:101]
	v_fmac_f64_e32 v[108:109], s[2:3], v[94:95]
	v_fmac_f64_e32 v[116:117], s[8:9], v[96:97]
	;; [unrolled: 1-line block ×3, first 2 shown]
	v_add_f64 v[96:97], v[84:85], v[90:91]
	v_fmac_f64_e32 v[102:103], -0.5, v[96:97]
	v_fma_f64 v[124:125], s[4:5], v[94:95], v[102:103]
	v_add_f64 v[84:85], v[86:87], -v[84:85]
	v_add_f64 v[86:87], v[88:89], -v[90:91]
	v_fmac_f64_e32 v[102:103], s[10:11], v[94:95]
	v_fmac_f64_e32 v[124:125], s[12:13], v[92:93]
	v_add_f64 v[84:85], v[84:85], v[86:87]
	v_fmac_f64_e32 v[102:103], s[2:3], v[92:93]
	v_fmac_f64_e32 v[124:125], s[8:9], v[84:85]
	;; [unrolled: 1-line block ×3, first 2 shown]
	v_mul_f64 v[150:151], v[114:115], s[10:11]
	v_add_f64 v[50:51], v[70:71], v[148:149]
	v_add_f64 v[70:71], v[70:71], -v[148:149]
	v_mul_f64 v[142:143], v[124:125], s[4:5]
	v_mul_f64 v[148:149], v[112:113], s[12:13]
	v_fmac_f64_e32 v[150:151], s[8:9], v[124:125]
	v_mul_f64 v[152:153], v[102:103], s[16:17]
	v_mul_f64 v[124:125], v[108:109], s[14:15]
	;; [unrolled: 1-line block ×4, first 2 shown]
	v_fmac_f64_e32 v[148:149], s[18:19], v[116:117]
	v_fmac_f64_e32 v[152:153], s[10:11], v[98:99]
	;; [unrolled: 1-line block ×6, first 2 shown]
	v_mul_f64 v[146:147], v[106:107], s[14:15]
	v_add_f64 v[94:95], v[134:135], v[110:111]
	v_add_f64 v[90:91], v[118:119], v[148:149]
	v_add_f64 v[102:103], v[2:3], v[152:153]
	v_add_f64 v[98:99], v[122:123], v[124:125]
	v_add_f64 v[114:115], v[134:135], -v[110:111]
	v_add_f64 v[110:111], v[118:119], -v[148:149]
	;; [unrolled: 1-line block ×4, first 2 shown]
	v_mul_u32_u24_e32 v122, 0x12c, v170
	v_add_f64 v[88:89], v[132:133], v[140:141]
	v_fmac_f64_e32 v[146:147], s[2:3], v[108:109]
	v_add_f64 v[108:109], v[132:133], -v[140:141]
	v_add_lshl_u32 v141, v122, v171, 4
	ds_write_b128 v141, v[12:15]
	ds_write_b128 v141, v[8:11] offset:480
	ds_write_b128 v141, v[4:7] offset:960
	;; [unrolled: 1-line block ×9, first 2 shown]
	v_mul_u32_u24_e32 v4, 0x12c, v172
	v_add_lshl_u32 v140, v4, v174, 4
	v_mad_legacy_u16 v4, v173, s6, v175
	v_mad_u64_u32 v[164:165], s[6:7], v156, s27, v[120:121]
	v_add_co_u32_e32 v122, vcc, s25, v164
	v_add_f64 v[92:93], v[126:127], v[104:105]
	v_add_f64 v[84:85], v[136:137], v[142:143]
	;; [unrolled: 1-line block ×5, first 2 shown]
	v_add_f64 v[112:113], v[126:127], -v[104:105]
	v_add_f64 v[104:105], v[136:137], -v[142:143]
	;; [unrolled: 1-line block ×5, first 2 shown]
	v_lshlrev_b32_e32 v241, 4, v4
	s_mov_b64 s[6:7], 0x1220
	v_addc_co_u32_e32 v123, vcc, 0, v165, vcc
	ds_write_b128 v140, v[56:59]
	ds_write_b128 v140, v[52:55] offset:480
	ds_write_b128 v140, v[48:51] offset:960
	;; [unrolled: 1-line block ×9, first 2 shown]
	ds_write_b128 v241, v[92:95]
	ds_write_b128 v241, v[88:91] offset:480
	ds_write_b128 v241, v[84:87] offset:960
	;; [unrolled: 1-line block ×9, first 2 shown]
	s_waitcnt lgkmcnt(0)
	s_barrier
	ds_read_b128 v[8:11], v240
	ds_read_b128 v[116:119], v240 offset:4800
	ds_read_b128 v[112:115], v240 offset:9600
	ds_read_b128 v[108:111], v240 offset:14400
	ds_read_b128 v[104:107], v240 offset:19200
	ds_read_b128 v[100:103], v240 offset:24000
	ds_read_b128 v[96:99], v240 offset:28800
	ds_read_b128 v[92:95], v240 offset:33600
	ds_read_b128 v[88:91], v240 offset:38400
	ds_read_b128 v[84:87], v240 offset:43200
	ds_read_b128 v[0:3], v240 offset:1600
	ds_read_b128 v[80:83], v240 offset:6400
	ds_read_b128 v[76:79], v240 offset:11200
	ds_read_b128 v[72:75], v240 offset:16000
	ds_read_b128 v[68:71], v240 offset:20800
	ds_read_b128 v[64:67], v240 offset:25600
	ds_read_b128 v[60:63], v240 offset:30400
	ds_read_b128 v[56:59], v240 offset:35200
	ds_read_b128 v[52:55], v240 offset:40000
	ds_read_b128 v[48:51], v240 offset:44800
	ds_read_b128 v[4:7], v240 offset:3200
	ds_read_b128 v[44:47], v240 offset:8000
	ds_read_b128 v[40:43], v240 offset:12800
	ds_read_b128 v[36:39], v240 offset:17600
	ds_read_b128 v[32:35], v240 offset:22400
	ds_read_b128 v[28:31], v240 offset:27200
	ds_read_b128 v[24:27], v240 offset:32000
	ds_read_b128 v[20:23], v240 offset:36800
	ds_read_b128 v[16:19], v240 offset:41600
	ds_read_b128 v[12:15], v240 offset:46400
	v_lshl_add_u64 v[120:121], v[164:165], 0, s[6:7]
	global_load_dwordx4 v[232:235], v[122:123], off offset:544
	global_load_dwordx4 v[132:135], v[120:121], off offset:48
	;; [unrolled: 1-line block ×4, first 2 shown]
	s_mov_b64 s[6:7], 0x1260
	s_waitcnt vmcnt(3) lgkmcnt(14)
	v_mul_f64 v[120:121], v[118:119], v[234:235]
	v_mul_f64 v[254:255], v[116:117], v[234:235]
	v_fma_f64 v[252:253], v[116:117], v[232:233], -v[120:121]
	v_fmac_f64_e32 v[254:255], v[118:119], v[232:233]
	s_waitcnt vmcnt(1)
	v_mov_b64_e32 v[118:119], v[124:125]
	s_waitcnt vmcnt(0)
	v_mul_f64 v[116:117], v[114:115], v[238:239]
	v_mov_b64_e32 v[120:121], v[126:127]
	v_fma_f64 v[116:117], v[112:113], v[236:237], -v[116:117]
	v_mul_f64 v[130:131], v[112:113], v[238:239]
	v_mul_f64 v[112:113], v[110:111], v[120:121]
	;; [unrolled: 1-line block ×3, first 2 shown]
	v_accvgpr_write_b32 a16, v118
	v_fma_f64 v[124:125], v[108:109], v[118:119], -v[112:113]
	v_fmac_f64_e32 v[250:251], v[110:111], v[118:119]
	v_accvgpr_write_b32 a17, v119
	v_accvgpr_write_b32 a18, v120
	;; [unrolled: 1-line block ×3, first 2 shown]
	v_mov_b64_e32 v[118:119], v[132:133]
	v_mov_b64_e32 v[120:121], v[134:135]
	v_mul_f64 v[108:109], v[106:107], v[120:121]
	v_mul_f64 v[132:133], v[104:105], v[120:121]
	v_accvgpr_write_b32 a8, v118
	v_fma_f64 v[112:113], v[104:105], v[118:119], -v[108:109]
	v_fmac_f64_e32 v[132:133], v[106:107], v[118:119]
	v_accvgpr_write_b32 a9, v119
	v_accvgpr_write_b32 a10, v120
	;; [unrolled: 1-line block ×3, first 2 shown]
	v_lshl_add_u64 v[104:105], v[164:165], 0, s[6:7]
	global_load_dwordx4 v[216:219], v[122:123], off offset:608
	global_load_dwordx4 v[106:109], v[104:105], off offset:48
	;; [unrolled: 1-line block ×5, first 2 shown]
	v_fmac_f64_e32 v[130:131], v[114:115], v[236:237]
	s_mov_b64 s[6:7], 0x4a60
	s_waitcnt vmcnt(4)
	v_mul_f64 v[104:105], v[102:103], v[218:219]
	v_fma_f64 v[126:127], v[100:101], v[216:217], -v[104:105]
	v_mul_f64 v[100:101], v[100:101], v[218:219]
	v_fmac_f64_e32 v[100:101], v[102:103], v[216:217]
	s_waitcnt vmcnt(1)
	v_mul_f64 v[102:103], v[98:99], v[120:121]
	v_fma_f64 v[136:137], v[96:97], v[118:119], -v[102:103]
	v_mul_f64 v[134:135], v[96:97], v[120:121]
	v_mul_f64 v[96:97], v[94:95], v[228:229]
	v_fma_f64 v[114:115], v[92:93], v[226:227], -v[96:97]
	v_mul_f64 v[92:93], v[92:93], v[228:229]
	v_fmac_f64_e32 v[92:93], v[94:95], v[226:227]
	v_mul_f64 v[94:95], v[90:91], v[108:109]
	v_fma_f64 v[138:139], v[88:89], v[106:107], -v[94:95]
	s_waitcnt vmcnt(0)
	v_mul_f64 v[94:95], v[84:85], v[214:215]
	v_mul_f64 v[158:159], v[88:89], v[108:109]
	;; [unrolled: 1-line block ×3, first 2 shown]
	v_fmac_f64_e32 v[94:95], v[86:87], v[212:213]
	v_add_co_u32_e32 v86, vcc, s24, v164
	v_fma_f64 v[96:97], v[84:85], v[212:213], -v[88:89]
	s_nop 0
	v_addc_co_u32_e32 v87, vcc, 0, v165, vcc
	v_lshl_add_u64 v[84:85], v[164:165], 0, s[6:7]
	global_load_dwordx4 v[148:151], v[86:87], off offset:2656
	global_load_dwordx4 v[200:203], v[84:85], off offset:48
	;; [unrolled: 1-line block ×4, first 2 shown]
	v_accvgpr_write_b32 a12, v118
	v_accvgpr_write_b32 a13, v119
	;; [unrolled: 1-line block ×4, first 2 shown]
	s_mov_b64 s[6:7], 0x4aa0
	v_fmac_f64_e32 v[158:159], v[90:91], v[106:107]
	v_fmac_f64_e32 v[134:135], v[98:99], v[118:119]
	v_accvgpr_write_b32 a20, v106
	v_accvgpr_write_b32 a21, v107
	;; [unrolled: 1-line block ×4, first 2 shown]
	s_waitcnt vmcnt(3)
	v_mul_f64 v[84:85], v[82:83], v[150:151]
	v_fma_f64 v[120:121], v[80:81], v[148:149], -v[84:85]
	v_mul_f64 v[80:81], v[80:81], v[150:151]
	v_fmac_f64_e32 v[80:81], v[82:83], v[148:149]
	s_waitcnt vmcnt(0)
	v_mul_f64 v[82:83], v[78:79], v[146:147]
	v_fma_f64 v[122:123], v[76:77], v[144:145], -v[82:83]
	v_mul_f64 v[82:83], v[76:77], v[146:147]
	v_mul_f64 v[76:77], v[74:75], v[172:173]
	v_fma_f64 v[76:77], v[72:73], v[170:171], -v[76:77]
	v_mul_f64 v[72:73], v[72:73], v[172:173]
	v_fmac_f64_e32 v[72:73], v[74:75], v[170:171]
	v_mul_f64 v[74:75], v[70:71], v[202:203]
	v_fmac_f64_e32 v[82:83], v[78:79], v[144:145]
	v_fma_f64 v[78:79], v[68:69], v[200:201], -v[74:75]
	v_mul_f64 v[74:75], v[68:69], v[202:203]
	v_lshl_add_u64 v[68:69], v[164:165], 0, s[6:7]
	global_load_dwordx4 v[152:155], v[86:87], off offset:2720
	global_load_dwordx4 v[204:207], v[68:69], off offset:48
	;; [unrolled: 1-line block ×5, first 2 shown]
	v_fmac_f64_e32 v[74:75], v[70:71], v[200:201]
	s_mov_b64 s[6:7], 0x82a0
	s_waitcnt vmcnt(4)
	v_mul_f64 v[68:69], v[66:67], v[154:155]
	v_fma_f64 v[68:69], v[64:65], v[152:153], -v[68:69]
	v_mul_f64 v[64:65], v[64:65], v[154:155]
	v_fmac_f64_e32 v[64:65], v[66:67], v[152:153]
	s_waitcnt vmcnt(1) lgkmcnt(13)
	v_mul_f64 v[66:67], v[62:63], v[162:163]
	v_fma_f64 v[70:71], v[60:61], v[160:161], -v[66:67]
	v_mul_f64 v[66:67], v[60:61], v[162:163]
	s_waitcnt lgkmcnt(12)
	v_mul_f64 v[60:61], v[58:59], v[90:91]
	v_fma_f64 v[60:61], v[56:57], v[88:89], -v[60:61]
	v_mul_f64 v[56:57], v[56:57], v[90:91]
	v_fmac_f64_e32 v[56:57], v[58:59], v[88:89]
	s_waitcnt lgkmcnt(11)
	v_mul_f64 v[58:59], v[54:55], v[206:207]
	v_fmac_f64_e32 v[66:67], v[62:63], v[160:161]
	v_fma_f64 v[62:63], v[52:53], v[204:205], -v[58:59]
	v_mul_f64 v[58:59], v[52:53], v[206:207]
	v_fmac_f64_e32 v[58:59], v[54:55], v[204:205]
	s_waitcnt vmcnt(0) lgkmcnt(10)
	v_mul_f64 v[52:53], v[50:51], v[186:187]
	v_add_co_u32_e32 v54, vcc, s26, v164
	v_fma_f64 v[52:53], v[48:49], v[184:185], -v[52:53]
	v_mul_f64 v[48:49], v[48:49], v[186:187]
	v_addc_co_u32_e32 v55, vcc, 0, v165, vcc
	v_fmac_f64_e32 v[48:49], v[50:51], v[184:185]
	v_lshl_add_u64 v[50:51], v[164:165], 0, s[6:7]
	global_load_dwordx4 v[166:169], v[54:55], off offset:672
	global_load_dwordx4 v[208:211], v[50:51], off offset:48
	;; [unrolled: 1-line block ×4, first 2 shown]
	s_mov_b64 s[6:7], 0x82e0
	v_accvgpr_write_b32 a0, v88
	v_accvgpr_write_b32 a1, v89
	;; [unrolled: 1-line block ×4, first 2 shown]
	s_waitcnt vmcnt(3) lgkmcnt(8)
	v_mul_f64 v[50:51], v[46:47], v[168:169]
	v_fma_f64 v[98:99], v[44:45], v[166:167], -v[50:51]
	v_mul_f64 v[102:103], v[44:45], v[168:169]
	s_waitcnt vmcnt(0) lgkmcnt(7)
	v_mul_f64 v[44:45], v[42:43], v[182:183]
	v_fma_f64 v[44:45], v[40:41], v[180:181], -v[44:45]
	v_mul_f64 v[104:105], v[40:41], v[182:183]
	s_waitcnt lgkmcnt(6)
	v_mul_f64 v[40:41], v[38:39], v[194:195]
	v_fma_f64 v[40:41], v[36:37], v[192:193], -v[40:41]
	v_mul_f64 v[84:85], v[36:37], v[194:195]
	s_waitcnt lgkmcnt(5)
	v_mul_f64 v[36:37], v[34:35], v[210:211]
	v_fma_f64 v[36:37], v[32:33], v[208:209], -v[36:37]
	v_mul_f64 v[106:107], v[32:33], v[210:211]
	v_lshl_add_u64 v[32:33], v[164:165], 0, s[6:7]
	global_load_dwordx4 v[174:177], v[54:55], off offset:736
	global_load_dwordx4 v[222:225], v[32:33], off offset:48
	global_load_dwordx4 v[196:199], v[32:33], off offset:32
	global_load_dwordx4 v[188:191], v[32:33], off offset:16
	v_fmac_f64_e32 v[102:103], v[46:47], v[166:167]
	v_fmac_f64_e32 v[104:105], v[42:43], v[180:181]
	;; [unrolled: 1-line block ×4, first 2 shown]
	v_add_f64 v[34:35], v[124:125], -v[126:127]
	s_mov_b64 s[6:7], 0xbb80
	s_waitcnt vmcnt(3) lgkmcnt(4)
	v_mul_f64 v[32:33], v[30:31], v[176:177]
	v_fma_f64 v[46:47], v[28:29], v[174:175], -v[32:33]
	v_mul_f64 v[86:87], v[28:29], v[176:177]
	s_waitcnt vmcnt(0) lgkmcnt(3)
	v_mul_f64 v[28:29], v[26:27], v[190:191]
	v_fma_f64 v[42:43], v[24:25], v[188:189], -v[28:29]
	v_mul_f64 v[108:109], v[24:25], v[190:191]
	s_waitcnt lgkmcnt(2)
	v_mul_f64 v[24:25], v[22:23], v[198:199]
	v_fmac_f64_e32 v[108:109], v[26:27], v[188:189]
	v_fma_f64 v[26:27], v[20:21], v[196:197], -v[24:25]
	v_mul_f64 v[88:89], v[20:21], v[198:199]
	s_waitcnt lgkmcnt(1)
	v_mul_f64 v[20:21], v[18:19], v[224:225]
	v_mul_f64 v[110:111], v[16:17], v[224:225]
	v_fma_f64 v[118:119], v[16:17], v[222:223], -v[20:21]
	v_fmac_f64_e32 v[110:111], v[18:19], v[222:223]
	global_load_dwordx4 v[18:21], v[54:55], off offset:800
	v_fmac_f64_e32 v[88:89], v[22:23], v[196:197]
	v_add_f64 v[22:23], v[116:117], -v[112:113]
	v_add_f64 v[28:29], v[138:139], -v[136:137]
	v_add_f64 v[22:23], v[22:23], v[28:29]
	v_add_f64 v[28:29], v[136:137], -v[138:139]
	v_fmac_f64_e32 v[86:87], v[30:31], v[174:175]
	v_add_f64 v[30:31], v[158:159], -v[134:135]
	v_add_f64 v[32:33], v[100:101], -v[92:93]
	s_waitcnt vmcnt(0) lgkmcnt(0)
	v_mul_f64 v[90:91], v[12:13], v[20:21]
	v_mul_f64 v[16:17], v[14:15], v[20:21]
	v_fmac_f64_e32 v[90:91], v[14:15], v[18:19]
	v_add_f64 v[14:15], v[112:113], v[136:137]
	v_fma_f64 v[24:25], v[12:13], v[18:19], -v[16:17]
	v_accvgpr_write_b32 a4, v18
	v_fma_f64 v[14:15], -0.5, v[14:15], v[8:9]
	v_add_f64 v[16:17], v[130:131], -v[158:159]
	v_accvgpr_write_b32 a5, v19
	v_accvgpr_write_b32 a6, v20
	;; [unrolled: 1-line block ×3, first 2 shown]
	v_fma_f64 v[18:19], s[4:5], v[16:17], v[14:15]
	v_add_f64 v[20:21], v[132:133], -v[134:135]
	v_fmac_f64_e32 v[14:15], s[10:11], v[16:17]
	v_fmac_f64_e32 v[18:19], s[2:3], v[20:21]
	;; [unrolled: 1-line block ×5, first 2 shown]
	v_add_f64 v[22:23], v[116:117], v[138:139]
	v_add_f64 v[12:13], v[8:9], v[116:117]
	v_fmac_f64_e32 v[8:9], -0.5, v[22:23]
	v_fma_f64 v[50:51], s[10:11], v[20:21], v[8:9]
	v_fmac_f64_e32 v[8:9], s[4:5], v[20:21]
	v_fmac_f64_e32 v[50:51], s[2:3], v[16:17]
	;; [unrolled: 1-line block ×3, first 2 shown]
	v_add_f64 v[16:17], v[10:11], v[130:131]
	v_add_f64 v[22:23], v[112:113], -v[116:117]
	v_add_f64 v[16:17], v[16:17], v[132:133]
	v_add_f64 v[22:23], v[22:23], v[28:29]
	;; [unrolled: 1-line block ×3, first 2 shown]
	v_fmac_f64_e32 v[50:51], s[8:9], v[22:23]
	v_fmac_f64_e32 v[8:9], s[8:9], v[22:23]
	v_add_f64 v[22:23], v[16:17], v[158:159]
	v_add_f64 v[16:17], v[132:133], v[134:135]
	v_fma_f64 v[38:39], -0.5, v[16:17], v[10:11]
	v_add_f64 v[16:17], v[116:117], -v[138:139]
	v_fma_f64 v[54:55], s[10:11], v[16:17], v[38:39]
	v_add_f64 v[20:21], v[112:113], -v[136:137]
	v_add_f64 v[28:29], v[130:131], -v[132:133]
	v_fmac_f64_e32 v[38:39], s[4:5], v[16:17]
	v_fmac_f64_e32 v[54:55], s[12:13], v[20:21]
	v_add_f64 v[28:29], v[28:29], v[30:31]
	v_fmac_f64_e32 v[38:39], s[2:3], v[20:21]
	v_fmac_f64_e32 v[54:55], s[8:9], v[28:29]
	;; [unrolled: 1-line block ×3, first 2 shown]
	v_add_f64 v[28:29], v[130:131], v[158:159]
	v_fmac_f64_e32 v[10:11], -0.5, v[28:29]
	v_add_f64 v[12:13], v[12:13], v[112:113]
	v_fma_f64 v[112:113], s[4:5], v[20:21], v[10:11]
	v_add_f64 v[28:29], v[132:133], -v[130:131]
	v_add_f64 v[30:31], v[134:135], -v[158:159]
	v_fmac_f64_e32 v[10:11], s[10:11], v[20:21]
	v_fmac_f64_e32 v[112:113], s[12:13], v[16:17]
	v_add_f64 v[28:29], v[28:29], v[30:31]
	v_fmac_f64_e32 v[10:11], s[2:3], v[16:17]
	v_add_f64 v[20:21], v[126:127], v[114:115]
	v_fmac_f64_e32 v[112:113], s[8:9], v[28:29]
	v_fmac_f64_e32 v[10:11], s[8:9], v[28:29]
	v_fma_f64 v[20:21], -0.5, v[20:21], v[252:253]
	v_add_f64 v[28:29], v[250:251], -v[94:95]
	v_fma_f64 v[30:31], s[4:5], v[28:29], v[20:21]
	v_add_f64 v[116:117], v[96:97], -v[114:115]
	v_fmac_f64_e32 v[20:21], s[10:11], v[28:29]
	v_fmac_f64_e32 v[30:31], s[2:3], v[32:33]
	v_add_f64 v[34:35], v[34:35], v[116:117]
	v_fmac_f64_e32 v[20:21], s[12:13], v[32:33]
	v_fmac_f64_e32 v[30:31], s[8:9], v[34:35]
	;; [unrolled: 1-line block ×3, first 2 shown]
	v_add_f64 v[34:35], v[124:125], v[96:97]
	v_add_f64 v[16:17], v[252:253], v[124:125]
	v_fmac_f64_e32 v[252:253], -0.5, v[34:35]
	v_fma_f64 v[34:35], s[10:11], v[32:33], v[252:253]
	v_fmac_f64_e32 v[252:253], s[4:5], v[32:33]
	v_fmac_f64_e32 v[34:35], s[2:3], v[28:29]
	;; [unrolled: 1-line block ×3, first 2 shown]
	v_add_f64 v[28:29], v[254:255], v[250:251]
	v_add_f64 v[116:117], v[126:127], -v[124:125]
	v_add_f64 v[130:131], v[114:115], -v[96:97]
	v_add_f64 v[28:29], v[28:29], v[100:101]
	v_add_f64 v[116:117], v[116:117], v[130:131]
	v_add_f64 v[28:29], v[28:29], v[92:93]
	v_add_f64 v[12:13], v[12:13], v[136:137]
	v_add_f64 v[16:17], v[16:17], v[126:127]
	v_fmac_f64_e32 v[34:35], s[8:9], v[116:117]
	v_fmac_f64_e32 v[252:253], s[8:9], v[116:117]
	v_add_f64 v[116:117], v[28:29], v[94:95]
	v_add_f64 v[28:29], v[100:101], v[92:93]
	;; [unrolled: 1-line block ×4, first 2 shown]
	v_fma_f64 v[138:139], -0.5, v[28:29], v[254:255]
	v_add_f64 v[28:29], v[124:125], -v[96:97]
	v_add_f64 v[16:17], v[16:17], v[96:97]
	v_fma_f64 v[96:97], s[10:11], v[28:29], v[138:139]
	v_add_f64 v[32:33], v[126:127], -v[114:115]
	v_add_f64 v[114:115], v[250:251], -v[100:101]
	v_add_f64 v[124:125], v[94:95], -v[92:93]
	v_fmac_f64_e32 v[138:139], s[4:5], v[28:29]
	v_fmac_f64_e32 v[96:97], s[12:13], v[32:33]
	v_add_f64 v[114:115], v[114:115], v[124:125]
	v_fmac_f64_e32 v[138:139], s[2:3], v[32:33]
	v_fmac_f64_e32 v[96:97], s[8:9], v[114:115]
	;; [unrolled: 1-line block ×3, first 2 shown]
	v_add_f64 v[114:115], v[250:251], v[94:95]
	v_fmac_f64_e32 v[254:255], -0.5, v[114:115]
	v_fma_f64 v[114:115], s[4:5], v[32:33], v[254:255]
	v_add_f64 v[100:101], v[100:101], -v[250:251]
	v_add_f64 v[92:93], v[92:93], -v[94:95]
	v_fmac_f64_e32 v[114:115], s[12:13], v[28:29]
	v_add_f64 v[92:93], v[100:101], v[92:93]
	v_fmac_f64_e32 v[114:115], s[8:9], v[92:93]
	v_fmac_f64_e32 v[254:255], s[10:11], v[32:33]
	;; [unrolled: 1-line block ×3, first 2 shown]
	v_mul_f64 v[94:95], v[114:115], s[4:5]
	v_fmac_f64_e32 v[254:255], s[8:9], v[92:93]
	v_mul_f64 v[92:93], v[96:97], s[2:3]
	v_fmac_f64_e32 v[94:95], s[8:9], v[34:35]
	v_mul_f64 v[142:143], v[20:21], s[14:15]
	v_mul_f64 v[158:159], v[30:31], s[12:13]
	v_fmac_f64_e32 v[92:93], s[18:19], v[30:31]
	v_add_f64 v[134:135], v[50:51], v[94:95]
	v_mul_f64 v[100:101], v[252:253], s[16:17]
	v_fmac_f64_e32 v[142:143], s[2:3], v[138:139]
	v_fmac_f64_e32 v[158:159], s[18:19], v[96:97]
	v_mul_f64 v[96:97], v[34:35], s[10:11]
	v_mul_f64 v[138:139], v[138:139], s[14:15]
	v_add_f64 v[250:251], v[50:51], -v[94:95]
	v_add_f64 v[50:51], v[78:79], v[70:71]
	v_add_f64 v[130:131], v[18:19], v[92:93]
	v_fmac_f64_e32 v[100:101], s[4:5], v[254:255]
	v_fmac_f64_e32 v[96:97], s[8:9], v[114:115]
	v_mul_f64 v[114:115], v[254:255], s[16:17]
	v_fmac_f64_e32 v[138:139], s[12:13], v[20:21]
	v_add_f64 v[20:21], v[18:19], -v[92:93]
	v_fma_f64 v[92:93], -0.5, v[50:51], v[0:1]
	v_add_f64 v[50:51], v[82:83], -v[58:59]
	v_add_f64 v[28:29], v[8:9], v[100:101]
	v_add_f64 v[126:127], v[22:23], v[116:117]
	;; [unrolled: 1-line block ×4, first 2 shown]
	v_fmac_f64_e32 v[114:115], s[10:11], v[252:253]
	v_add_f64 v[8:9], v[8:9], -v[100:101]
	v_add_f64 v[18:19], v[22:23], -v[116:117]
	;; [unrolled: 1-line block ×4, first 2 shown]
	v_fma_f64 v[94:95], s[4:5], v[50:51], v[92:93]
	v_add_f64 v[54:55], v[74:75], -v[66:67]
	v_add_f64 v[96:97], v[122:123], -v[78:79]
	;; [unrolled: 1-line block ×3, first 2 shown]
	v_fmac_f64_e32 v[92:93], s[10:11], v[50:51]
	v_fmac_f64_e32 v[94:95], s[2:3], v[54:55]
	v_add_f64 v[96:97], v[96:97], v[100:101]
	v_fmac_f64_e32 v[92:93], s[12:13], v[54:55]
	v_fmac_f64_e32 v[94:95], s[8:9], v[96:97]
	;; [unrolled: 1-line block ×3, first 2 shown]
	v_add_f64 v[96:97], v[122:123], v[62:63]
	v_add_f64 v[124:125], v[12:13], v[16:17]
	v_add_f64 v[32:33], v[14:15], v[142:143]
	v_add_f64 v[34:35], v[38:39], v[138:139]
	v_add_f64 v[16:17], v[12:13], -v[16:17]
	v_add_f64 v[12:13], v[14:15], -v[142:143]
	;; [unrolled: 1-line block ×3, first 2 shown]
	v_add_f64 v[38:39], v[0:1], v[122:123]
	v_fmac_f64_e32 v[0:1], -0.5, v[96:97]
	v_fma_f64 v[112:113], s[10:11], v[54:55], v[0:1]
	v_fmac_f64_e32 v[0:1], s[4:5], v[54:55]
	v_fmac_f64_e32 v[112:113], s[2:3], v[50:51]
	;; [unrolled: 1-line block ×3, first 2 shown]
	v_add_f64 v[50:51], v[2:3], v[82:83]
	v_add_f64 v[96:97], v[78:79], -v[122:123]
	v_add_f64 v[100:101], v[70:71], -v[62:63]
	v_add_f64 v[50:51], v[50:51], v[74:75]
	v_add_f64 v[96:97], v[96:97], v[100:101]
	;; [unrolled: 1-line block ×4, first 2 shown]
	v_fmac_f64_e32 v[112:113], s[8:9], v[96:97]
	v_fmac_f64_e32 v[0:1], s[8:9], v[96:97]
	v_add_f64 v[96:97], v[50:51], v[58:59]
	v_add_f64 v[50:51], v[74:75], v[66:67]
	;; [unrolled: 1-line block ×3, first 2 shown]
	v_fma_f64 v[100:101], -0.5, v[50:51], v[2:3]
	v_add_f64 v[50:51], v[122:123], -v[62:63]
	v_add_f64 v[30:31], v[10:11], v[114:115]
	v_add_f64 v[10:11], v[10:11], -v[114:115]
	v_add_f64 v[38:39], v[38:39], v[62:63]
	v_fma_f64 v[114:115], s[10:11], v[50:51], v[100:101]
	v_add_f64 v[54:55], v[78:79], -v[70:71]
	v_add_f64 v[62:63], v[82:83], -v[74:75]
	;; [unrolled: 1-line block ×3, first 2 shown]
	v_fmac_f64_e32 v[100:101], s[4:5], v[50:51]
	v_fmac_f64_e32 v[114:115], s[12:13], v[54:55]
	v_add_f64 v[62:63], v[62:63], v[70:71]
	v_fmac_f64_e32 v[100:101], s[2:3], v[54:55]
	v_fmac_f64_e32 v[114:115], s[8:9], v[62:63]
	;; [unrolled: 1-line block ×3, first 2 shown]
	v_add_f64 v[62:63], v[82:83], v[58:59]
	v_fmac_f64_e32 v[2:3], -0.5, v[62:63]
	v_fma_f64 v[70:71], s[4:5], v[54:55], v[2:3]
	v_fmac_f64_e32 v[2:3], s[10:11], v[54:55]
	v_fmac_f64_e32 v[70:71], s[12:13], v[50:51]
	;; [unrolled: 1-line block ×3, first 2 shown]
	v_add_f64 v[50:51], v[120:121], v[76:77]
	v_add_f64 v[50:51], v[50:51], v[68:69]
	;; [unrolled: 1-line block ×3, first 2 shown]
	v_add_f64 v[62:63], v[74:75], -v[82:83]
	v_add_f64 v[58:59], v[66:67], -v[58:59]
	v_add_f64 v[74:75], v[50:51], v[52:53]
	v_add_f64 v[50:51], v[68:69], v[60:61]
	;; [unrolled: 1-line block ×3, first 2 shown]
	v_fma_f64 v[62:63], -0.5, v[50:51], v[120:121]
	v_add_f64 v[50:51], v[72:73], -v[48:49]
	v_fmac_f64_e32 v[70:71], s[8:9], v[58:59]
	v_fmac_f64_e32 v[2:3], s[8:9], v[58:59]
	v_fma_f64 v[54:55], s[4:5], v[50:51], v[62:63]
	v_add_f64 v[58:59], v[64:65], -v[56:57]
	v_add_f64 v[66:67], v[76:77], -v[68:69]
	;; [unrolled: 1-line block ×3, first 2 shown]
	v_fmac_f64_e32 v[62:63], s[10:11], v[50:51]
	v_fmac_f64_e32 v[54:55], s[2:3], v[58:59]
	v_add_f64 v[66:67], v[66:67], v[78:79]
	v_fmac_f64_e32 v[62:63], s[12:13], v[58:59]
	v_fmac_f64_e32 v[54:55], s[8:9], v[66:67]
	;; [unrolled: 1-line block ×3, first 2 shown]
	v_add_f64 v[66:67], v[76:77], v[52:53]
	v_fmac_f64_e32 v[120:121], -0.5, v[66:67]
	v_fma_f64 v[66:67], s[10:11], v[58:59], v[120:121]
	v_fmac_f64_e32 v[120:121], s[4:5], v[58:59]
	v_fmac_f64_e32 v[66:67], s[2:3], v[50:51]
	;; [unrolled: 1-line block ×3, first 2 shown]
	v_add_f64 v[50:51], v[80:81], v[72:73]
	v_add_f64 v[78:79], v[68:69], -v[76:77]
	v_add_f64 v[82:83], v[60:61], -v[52:53]
	v_add_f64 v[50:51], v[50:51], v[64:65]
	v_add_f64 v[78:79], v[78:79], v[82:83]
	;; [unrolled: 1-line block ×3, first 2 shown]
	v_fmac_f64_e32 v[66:67], s[8:9], v[78:79]
	v_fmac_f64_e32 v[120:121], s[8:9], v[78:79]
	v_add_f64 v[78:79], v[50:51], v[48:49]
	v_add_f64 v[50:51], v[64:65], v[56:57]
	v_fma_f64 v[82:83], -0.5, v[50:51], v[80:81]
	v_add_f64 v[50:51], v[76:77], -v[52:53]
	v_fma_f64 v[76:77], s[10:11], v[50:51], v[82:83]
	v_add_f64 v[52:53], v[68:69], -v[60:61]
	v_add_f64 v[58:59], v[72:73], -v[64:65]
	;; [unrolled: 1-line block ×3, first 2 shown]
	v_fmac_f64_e32 v[82:83], s[4:5], v[50:51]
	v_fmac_f64_e32 v[76:77], s[12:13], v[52:53]
	v_add_f64 v[58:59], v[58:59], v[60:61]
	v_fmac_f64_e32 v[82:83], s[2:3], v[52:53]
	v_fmac_f64_e32 v[76:77], s[8:9], v[58:59]
	;; [unrolled: 1-line block ×3, first 2 shown]
	v_add_f64 v[58:59], v[72:73], v[48:49]
	v_fmac_f64_e32 v[80:81], -0.5, v[58:59]
	v_fma_f64 v[68:69], s[4:5], v[52:53], v[80:81]
	v_add_f64 v[58:59], v[64:65], -v[72:73]
	v_add_f64 v[48:49], v[56:57], -v[48:49]
	v_fmac_f64_e32 v[80:81], s[10:11], v[52:53]
	v_add_f64 v[48:49], v[58:59], v[48:49]
	v_fmac_f64_e32 v[80:81], s[2:3], v[50:51]
	v_fmac_f64_e32 v[68:69], s[12:13], v[50:51]
	;; [unrolled: 1-line block ×3, first 2 shown]
	v_mul_f64 v[122:123], v[120:121], s[16:17]
	v_mul_f64 v[138:139], v[62:63], s[14:15]
	v_fmac_f64_e32 v[68:69], s[8:9], v[48:49]
	v_fmac_f64_e32 v[122:123], s[4:5], v[80:81]
	;; [unrolled: 1-line block ×3, first 2 shown]
	v_mul_f64 v[142:143], v[54:55], s[12:13]
	v_mul_f64 v[164:165], v[80:81], s[16:17]
	;; [unrolled: 1-line block ×4, first 2 shown]
	v_add_f64 v[64:65], v[0:1], v[122:123]
	v_add_f64 v[60:61], v[92:93], v[138:139]
	v_fmac_f64_e32 v[142:143], s[18:19], v[76:77]
	v_fmac_f64_e32 v[164:165], s[10:11], v[120:121]
	v_mul_f64 v[120:121], v[82:83], s[14:15]
	v_add_f64 v[80:81], v[0:1], -v[122:123]
	v_add_f64 v[0:1], v[92:93], -v[138:139]
	v_add_f64 v[92:93], v[36:37], v[42:43]
	v_add_f64 v[56:57], v[38:39], v[74:75]
	v_fmac_f64_e32 v[72:73], s[18:19], v[54:55]
	v_fmac_f64_e32 v[116:117], s[8:9], v[66:67]
	v_add_f64 v[54:55], v[114:115], v[142:143]
	v_mul_f64 v[158:159], v[66:67], s[10:11]
	v_fmac_f64_e32 v[120:121], s[12:13], v[62:63]
	v_add_f64 v[76:77], v[38:39], -v[74:75]
	v_add_f64 v[74:75], v[114:115], -v[142:143]
	v_fma_f64 v[114:115], -0.5, v[92:93], v[4:5]
	v_add_f64 v[92:93], v[104:105], -v[110:111]
	v_add_f64 v[52:53], v[94:95], v[72:73]
	v_add_f64 v[48:49], v[112:113], v[116:117]
	;; [unrolled: 1-line block ×3, first 2 shown]
	v_fmac_f64_e32 v[158:159], s[8:9], v[68:69]
	v_add_f64 v[66:67], v[2:3], v[164:165]
	v_add_f64 v[62:63], v[100:101], v[120:121]
	v_add_f64 v[72:73], v[94:95], -v[72:73]
	v_add_f64 v[68:69], v[112:113], -v[116:117]
	;; [unrolled: 1-line block ×5, first 2 shown]
	v_fma_f64 v[116:117], s[4:5], v[92:93], v[114:115]
	v_add_f64 v[94:95], v[106:107], -v[108:109]
	v_add_f64 v[96:97], v[44:45], -v[36:37]
	;; [unrolled: 1-line block ×3, first 2 shown]
	v_fmac_f64_e32 v[114:115], s[10:11], v[92:93]
	v_fmac_f64_e32 v[116:117], s[2:3], v[94:95]
	v_add_f64 v[96:97], v[96:97], v[100:101]
	v_fmac_f64_e32 v[114:115], s[12:13], v[94:95]
	v_fmac_f64_e32 v[116:117], s[8:9], v[96:97]
	;; [unrolled: 1-line block ×3, first 2 shown]
	v_add_f64 v[96:97], v[44:45], v[118:119]
	v_add_f64 v[38:39], v[4:5], v[44:45]
	v_fmac_f64_e32 v[4:5], -0.5, v[96:97]
	v_fma_f64 v[138:139], s[10:11], v[94:95], v[4:5]
	v_fmac_f64_e32 v[4:5], s[4:5], v[94:95]
	v_fmac_f64_e32 v[138:139], s[2:3], v[92:93]
	v_fmac_f64_e32 v[4:5], s[12:13], v[92:93]
	v_add_f64 v[92:93], v[6:7], v[104:105]
	v_add_f64 v[92:93], v[92:93], v[106:107]
	;; [unrolled: 1-line block ×6, first 2 shown]
	v_fma_f64 v[120:121], -0.5, v[92:93], v[6:7]
	v_add_f64 v[92:93], v[44:45], -v[118:119]
	v_add_f64 v[38:39], v[38:39], v[42:43]
	v_add_f64 v[96:97], v[36:37], -v[44:45]
	v_add_f64 v[100:101], v[42:43], -v[118:119]
	v_fma_f64 v[44:45], s[10:11], v[92:93], v[120:121]
	v_add_f64 v[42:43], v[36:37], -v[42:43]
	v_add_f64 v[36:37], v[104:105], -v[106:107]
	;; [unrolled: 1-line block ×3, first 2 shown]
	v_fmac_f64_e32 v[120:121], s[4:5], v[92:93]
	v_fmac_f64_e32 v[44:45], s[12:13], v[42:43]
	v_add_f64 v[36:37], v[36:37], v[94:95]
	v_fmac_f64_e32 v[120:121], s[2:3], v[42:43]
	v_fmac_f64_e32 v[44:45], s[8:9], v[36:37]
	v_fmac_f64_e32 v[120:121], s[8:9], v[36:37]
	v_add_f64 v[36:37], v[104:105], v[110:111]
	v_fmac_f64_e32 v[6:7], -0.5, v[36:37]
	v_add_f64 v[96:97], v[96:97], v[100:101]
	v_fma_f64 v[36:37], s[4:5], v[42:43], v[6:7]
	v_fmac_f64_e32 v[6:7], s[10:11], v[42:43]
	v_fmac_f64_e32 v[138:139], s[8:9], v[96:97]
	;; [unrolled: 1-line block ×4, first 2 shown]
	v_add_f64 v[94:95], v[106:107], -v[104:105]
	v_add_f64 v[96:97], v[108:109], -v[110:111]
	v_fmac_f64_e32 v[6:7], s[2:3], v[92:93]
	v_add_f64 v[92:93], v[46:47], v[26:27]
	v_add_f64 v[94:95], v[94:95], v[96:97]
	v_fma_f64 v[104:105], -0.5, v[92:93], v[98:99]
	v_add_f64 v[92:93], v[84:85], -v[90:91]
	v_fmac_f64_e32 v[36:37], s[8:9], v[94:95]
	v_fmac_f64_e32 v[6:7], s[8:9], v[94:95]
	v_fma_f64 v[108:109], s[4:5], v[92:93], v[104:105]
	v_add_f64 v[94:95], v[86:87], -v[88:89]
	v_add_f64 v[96:97], v[40:41], -v[46:47]
	;; [unrolled: 1-line block ×3, first 2 shown]
	v_fmac_f64_e32 v[104:105], s[10:11], v[92:93]
	v_fmac_f64_e32 v[108:109], s[2:3], v[94:95]
	v_add_f64 v[96:97], v[96:97], v[100:101]
	v_fmac_f64_e32 v[104:105], s[12:13], v[94:95]
	v_fmac_f64_e32 v[108:109], s[8:9], v[96:97]
	;; [unrolled: 1-line block ×3, first 2 shown]
	v_add_f64 v[96:97], v[40:41], v[24:25]
	v_add_f64 v[42:43], v[98:99], v[40:41]
	v_fmac_f64_e32 v[98:99], -0.5, v[96:97]
	v_fma_f64 v[110:111], s[10:11], v[94:95], v[98:99]
	v_fmac_f64_e32 v[98:99], s[4:5], v[94:95]
	v_fmac_f64_e32 v[110:111], s[2:3], v[92:93]
	;; [unrolled: 1-line block ×3, first 2 shown]
	v_add_f64 v[92:93], v[102:103], v[84:85]
	v_add_f64 v[92:93], v[92:93], v[86:87]
	;; [unrolled: 1-line block ×8, first 2 shown]
	v_add_f64 v[100:101], v[26:27], -v[24:25]
	v_fma_f64 v[112:113], -0.5, v[92:93], v[102:103]
	v_add_f64 v[24:25], v[40:41], -v[24:25]
	v_add_f64 v[96:97], v[46:47], -v[40:41]
	v_fma_f64 v[40:41], s[10:11], v[24:25], v[112:113]
	v_add_f64 v[26:27], v[46:47], -v[26:27]
	v_add_f64 v[46:47], v[84:85], -v[86:87]
	;; [unrolled: 1-line block ×3, first 2 shown]
	v_fmac_f64_e32 v[112:113], s[4:5], v[24:25]
	v_fmac_f64_e32 v[40:41], s[12:13], v[26:27]
	v_add_f64 v[46:47], v[46:47], v[92:93]
	v_fmac_f64_e32 v[112:113], s[2:3], v[26:27]
	v_fmac_f64_e32 v[40:41], s[8:9], v[46:47]
	;; [unrolled: 1-line block ×3, first 2 shown]
	v_add_f64 v[46:47], v[84:85], v[90:91]
	v_fmac_f64_e32 v[102:103], -0.5, v[46:47]
	v_add_f64 v[96:97], v[96:97], v[100:101]
	v_fma_f64 v[46:47], s[4:5], v[26:27], v[102:103]
	v_add_f64 v[84:85], v[86:87], -v[84:85]
	v_add_f64 v[86:87], v[88:89], -v[90:91]
	v_fmac_f64_e32 v[102:103], s[10:11], v[26:27]
	v_fmac_f64_e32 v[110:111], s[8:9], v[96:97]
	;; [unrolled: 1-line block ×3, first 2 shown]
	v_add_f64 v[84:85], v[84:85], v[86:87]
	v_fmac_f64_e32 v[102:103], s[2:3], v[24:25]
	v_mul_f64 v[164:165], v[108:109], s[12:13]
	v_fmac_f64_e32 v[46:47], s[8:9], v[84:85]
	v_fmac_f64_e32 v[102:103], s[8:9], v[84:85]
	v_mul_f64 v[26:27], v[40:41], s[2:3]
	v_fmac_f64_e32 v[164:165], s[18:19], v[40:41]
	v_mul_f64 v[40:41], v[110:111], s[10:11]
	v_add_f64 v[38:39], v[38:39], v[118:119]
	v_fmac_f64_e32 v[98:99], s[8:9], v[96:97]
	v_mul_f64 v[118:119], v[46:47], s[4:5]
	v_fmac_f64_e32 v[40:41], s[8:9], v[46:47]
	v_mul_f64 v[46:47], v[102:103], s[16:17]
	v_mul_f64 v[24:25], v[112:113], s[14:15]
	v_add_f64 v[50:51], v[70:71], v[158:159]
	v_add_f64 v[70:71], v[70:71], -v[158:159]
	v_fmac_f64_e32 v[118:119], s[8:9], v[110:111]
	v_mul_f64 v[142:143], v[98:99], s[16:17]
	v_mul_f64 v[158:159], v[104:105], s[14:15]
	v_fmac_f64_e32 v[46:47], s[10:11], v[98:99]
	v_fmac_f64_e32 v[24:25], s[12:13], v[104:105]
	;; [unrolled: 1-line block ×3, first 2 shown]
	v_add_f64 v[84:85], v[138:139], v[118:119]
	v_fmac_f64_e32 v[142:143], s[4:5], v[102:103]
	v_fmac_f64_e32 v[158:159], s[2:3], v[112:113]
	v_add_f64 v[102:103], v[6:7], v[46:47]
	v_add_f64 v[104:105], v[138:139], -v[118:119]
	v_add_f64 v[118:119], v[6:7], -v[46:47]
	;; [unrolled: 1-line block ×3, first 2 shown]
	v_add_f64 v[92:93], v[38:39], v[42:43]
	v_add_f64 v[88:89], v[116:117], v[26:27]
	;; [unrolled: 1-line block ×8, first 2 shown]
	v_add_f64 v[112:113], v[38:39], -v[42:43]
	v_add_f64 v[108:109], v[116:117], -v[26:27]
	;; [unrolled: 1-line block ×7, first 2 shown]
	ds_write_b128 v240, v[124:127]
	ds_write_b128 v240, v[130:133] offset:4800
	ds_write_b128 v240, v[134:137] offset:9600
	;; [unrolled: 1-line block ×29, first 2 shown]
	s_waitcnt lgkmcnt(0)
	s_barrier
	global_load_dwordx4 v[6:9], v[230:231], off offset:2944
	ds_read_b128 v[0:3], v240
	v_lshl_add_u64 v[4:5], v[128:129], 0, s[6:7]
	s_mov_b32 s6, 0xc000
	s_waitcnt vmcnt(0) lgkmcnt(0)
	v_mul_f64 v[10:11], v[2:3], v[8:9]
	v_mul_f64 v[12:13], v[0:1], v[8:9]
	v_fma_f64 v[10:11], v[0:1], v[6:7], -v[10:11]
	v_fmac_f64_e32 v[12:13], v[2:3], v[6:7]
	v_add_co_u32_e32 v6, vcc, s6, v128
	ds_read_b128 v[0:3], v240 offset:4800
	s_nop 0
	v_addc_co_u32_e32 v7, vcc, 0, v129, vcc
	global_load_dwordx4 v[6:9], v[6:7], off offset:3648
	ds_write_b128 v240, v[10:13]
	s_mov_b32 s6, 0xe000
	s_waitcnt vmcnt(0) lgkmcnt(1)
	v_mul_f64 v[10:11], v[2:3], v[8:9]
	v_mul_f64 v[12:13], v[0:1], v[8:9]
	v_fma_f64 v[10:11], v[0:1], v[6:7], -v[10:11]
	v_fmac_f64_e32 v[12:13], v[2:3], v[6:7]
	v_add_co_u32_e32 v6, vcc, s6, v128
	ds_write_b128 v240, v[10:13] offset:4800
	s_nop 0
	v_addc_co_u32_e32 v7, vcc, 0, v129, vcc
	global_load_dwordx4 v[8:11], v[6:7], off offset:256
	ds_read_b128 v[0:3], v240 offset:9600
	s_mov_b32 s6, 0xf000
	v_add_co_u32_e32 v18, vcc, s6, v128
	s_mov_b32 s6, 0x10000
	s_nop 0
	v_addc_co_u32_e32 v19, vcc, 0, v129, vcc
	s_waitcnt vmcnt(0) lgkmcnt(0)
	v_mul_f64 v[12:13], v[2:3], v[10:11]
	v_mul_f64 v[14:15], v[0:1], v[10:11]
	v_fma_f64 v[12:13], v[0:1], v[8:9], -v[12:13]
	v_fmac_f64_e32 v[14:15], v[2:3], v[8:9]
	global_load_dwordx4 v[8:11], v[18:19], off offset:960
	ds_read_b128 v[0:3], v240 offset:14400
	ds_write_b128 v240, v[12:15] offset:9600
	s_waitcnt vmcnt(0) lgkmcnt(1)
	v_mul_f64 v[12:13], v[2:3], v[10:11]
	v_mul_f64 v[14:15], v[0:1], v[10:11]
	v_fma_f64 v[12:13], v[0:1], v[8:9], -v[12:13]
	v_fmac_f64_e32 v[14:15], v[2:3], v[8:9]
	v_add_co_u32_e32 v8, vcc, s6, v128
	ds_write_b128 v240, v[12:15] offset:14400
	s_nop 0
	v_addc_co_u32_e32 v9, vcc, 0, v129, vcc
	global_load_dwordx4 v[10:13], v[8:9], off offset:1664
	ds_read_b128 v[0:3], v240 offset:19200
	s_mov_b32 s6, 0x11000
	s_waitcnt vmcnt(0) lgkmcnt(0)
	v_mul_f64 v[14:15], v[2:3], v[12:13]
	v_mul_f64 v[16:17], v[0:1], v[12:13]
	v_fma_f64 v[14:15], v[0:1], v[10:11], -v[14:15]
	v_fmac_f64_e32 v[16:17], v[2:3], v[10:11]
	v_add_co_u32_e32 v10, vcc, s6, v128
	ds_write_b128 v240, v[14:17] offset:19200
	s_nop 0
	v_addc_co_u32_e32 v11, vcc, 0, v129, vcc
	global_load_dwordx4 v[12:15], v[10:11], off offset:2368
	ds_read_b128 v[0:3], v240 offset:24000
	s_mov_b32 s6, 0x12000
	s_waitcnt vmcnt(0) lgkmcnt(0)
	v_mul_f64 v[16:17], v[2:3], v[14:15]
	v_mul_f64 v[22:23], v[0:1], v[14:15]
	v_add_co_u32_e32 v14, vcc, s6, v128
	v_fma_f64 v[20:21], v[0:1], v[12:13], -v[16:17]
	v_fmac_f64_e32 v[22:23], v[2:3], v[12:13]
	v_addc_co_u32_e32 v15, vcc, 0, v129, vcc
	ds_write_b128 v240, v[20:23] offset:24000
	global_load_dwordx4 v[20:23], v[14:15], off offset:3072
	ds_read_b128 v[0:3], v240 offset:28800
	s_mov_b32 s6, 0x13000
	v_add_co_u32_e32 v16, vcc, s6, v128
	s_mov_b32 s6, 0x15000
	s_nop 0
	v_addc_co_u32_e32 v17, vcc, 0, v129, vcc
	s_waitcnt vmcnt(0) lgkmcnt(0)
	v_mul_f64 v[12:13], v[2:3], v[22:23]
	v_mul_f64 v[26:27], v[0:1], v[22:23]
	v_fma_f64 v[24:25], v[0:1], v[20:21], -v[12:13]
	v_fmac_f64_e32 v[26:27], v[2:3], v[20:21]
	global_load_dwordx4 v[20:23], v[16:17], off offset:3776
	ds_read_b128 v[0:3], v240 offset:33600
	ds_write_b128 v240, v[24:27] offset:28800
	s_waitcnt vmcnt(0) lgkmcnt(1)
	v_mul_f64 v[12:13], v[2:3], v[22:23]
	v_fma_f64 v[24:25], v[0:1], v[20:21], -v[12:13]
	v_add_co_u32_e32 v12, vcc, s6, v128
	v_mul_f64 v[26:27], v[0:1], v[22:23]
	s_nop 0
	v_addc_co_u32_e32 v13, vcc, 0, v129, vcc
	v_fmac_f64_e32 v[26:27], v[2:3], v[20:21]
	global_load_dwordx4 v[20:23], v[12:13], off offset:384
	ds_read_b128 v[0:3], v240 offset:38400
	ds_write_b128 v240, v[24:27] offset:33600
	s_mov_b32 s6, 0x16000
	s_waitcnt vmcnt(0) lgkmcnt(1)
	v_mul_f64 v[24:25], v[2:3], v[22:23]
	v_mul_f64 v[26:27], v[0:1], v[22:23]
	v_fma_f64 v[24:25], v[0:1], v[20:21], -v[24:25]
	v_fmac_f64_e32 v[26:27], v[2:3], v[20:21]
	v_add_co_u32_e32 v20, vcc, s6, v128
	ds_write_b128 v240, v[24:27] offset:38400
	s_nop 0
	v_addc_co_u32_e32 v21, vcc, 0, v129, vcc
	global_load_dwordx4 v[22:25], v[20:21], off offset:1088
	ds_read_b128 v[0:3], v240 offset:43200
	s_mov_b32 s6, 0xd000
	v_add_co_u32_e32 v30, vcc, s6, v128
	s_mov_b32 s6, 0x14000
	s_nop 0
	v_addc_co_u32_e32 v31, vcc, 0, v129, vcc
	v_add_co_u32_e32 v32, vcc, s6, v128
	s_mov_b32 s6, 0x17000
	s_nop 0
	v_addc_co_u32_e32 v33, vcc, 0, v129, vcc
	s_waitcnt vmcnt(0) lgkmcnt(0)
	v_mul_f64 v[26:27], v[2:3], v[24:25]
	v_mul_f64 v[28:29], v[0:1], v[24:25]
	v_fma_f64 v[26:27], v[0:1], v[22:23], -v[26:27]
	v_fmac_f64_e32 v[28:29], v[2:3], v[22:23]
	global_load_dwordx4 v[22:25], v[4:5], off offset:1600
	ds_read_b128 v[0:3], v240 offset:1600
	ds_write_b128 v240, v[26:29] offset:43200
	s_waitcnt vmcnt(0) lgkmcnt(1)
	v_mul_f64 v[26:27], v[2:3], v[24:25]
	v_mul_f64 v[28:29], v[0:1], v[24:25]
	v_fma_f64 v[26:27], v[0:1], v[22:23], -v[26:27]
	v_fmac_f64_e32 v[28:29], v[2:3], v[22:23]
	global_load_dwordx4 v[22:25], v[30:31], off offset:1152
	ds_read_b128 v[0:3], v240 offset:6400
	ds_write_b128 v240, v[26:29] offset:1600
	;; [unrolled: 8-line block ×9, first 2 shown]
	s_waitcnt vmcnt(0) lgkmcnt(1)
	v_mul_f64 v[18:19], v[2:3], v[24:25]
	v_fma_f64 v[26:27], v[0:1], v[22:23], -v[18:19]
	global_load_dwordx4 v[18:21], v[20:21], off offset:2688
	v_mul_f64 v[28:29], v[0:1], v[24:25]
	v_fmac_f64_e32 v[28:29], v[2:3], v[22:23]
	ds_read_b128 v[0:3], v240 offset:44800
	ds_write_b128 v240, v[26:29] offset:40000
	s_waitcnt vmcnt(0) lgkmcnt(1)
	v_mul_f64 v[22:23], v[2:3], v[20:21]
	v_mul_f64 v[24:25], v[0:1], v[20:21]
	v_fma_f64 v[22:23], v[0:1], v[18:19], -v[22:23]
	v_fmac_f64_e32 v[24:25], v[2:3], v[18:19]
	global_load_dwordx4 v[18:21], v[4:5], off offset:3200
	ds_read_b128 v[0:3], v240 offset:3200
	ds_write_b128 v240, v[22:25] offset:44800
	s_waitcnt vmcnt(0) lgkmcnt(1)
	v_mul_f64 v[4:5], v[2:3], v[20:21]
	v_mul_f64 v[24:25], v[0:1], v[20:21]
	v_fma_f64 v[22:23], v[0:1], v[18:19], -v[4:5]
	v_fmac_f64_e32 v[24:25], v[2:3], v[18:19]
	global_load_dwordx4 v[18:21], v[30:31], off offset:2752
	ds_read_b128 v[0:3], v240 offset:8000
	ds_write_b128 v240, v[22:25] offset:3200
	s_waitcnt vmcnt(0) lgkmcnt(1)
	v_mul_f64 v[4:5], v[2:3], v[20:21]
	v_fma_f64 v[22:23], v[0:1], v[18:19], -v[4:5]
	global_load_dwordx4 v[4:7], v[6:7], off offset:3456
	v_mul_f64 v[24:25], v[0:1], v[20:21]
	v_fmac_f64_e32 v[24:25], v[2:3], v[18:19]
	ds_read_b128 v[0:3], v240 offset:12800
	ds_write_b128 v240, v[22:25] offset:8000
	s_waitcnt vmcnt(0) lgkmcnt(1)
	v_mul_f64 v[18:19], v[2:3], v[6:7]
	v_mul_f64 v[20:21], v[0:1], v[6:7]
	v_fma_f64 v[18:19], v[0:1], v[4:5], -v[18:19]
	v_fmac_f64_e32 v[20:21], v[2:3], v[4:5]
	global_load_dwordx4 v[4:7], v[8:9], off offset:64
	ds_read_b128 v[0:3], v240 offset:17600
	ds_write_b128 v240, v[18:21] offset:12800
	s_waitcnt vmcnt(0) lgkmcnt(1)
	v_mul_f64 v[8:9], v[2:3], v[6:7]
	v_mul_f64 v[20:21], v[0:1], v[6:7]
	v_fma_f64 v[18:19], v[0:1], v[4:5], -v[8:9]
	v_fmac_f64_e32 v[20:21], v[2:3], v[4:5]
	global_load_dwordx4 v[4:7], v[10:11], off offset:768
	;; [unrolled: 8-line block ×6, first 2 shown]
	ds_read_b128 v[0:3], v240 offset:41600
	ds_write_b128 v240, v[8:11] offset:36800
	s_waitcnt vmcnt(0) lgkmcnt(1)
	v_mul_f64 v[8:9], v[2:3], v[6:7]
	v_mul_f64 v[10:11], v[0:1], v[6:7]
	v_fma_f64 v[8:9], v[0:1], v[4:5], -v[8:9]
	v_fmac_f64_e32 v[10:11], v[2:3], v[4:5]
	v_add_co_u32_e32 v4, vcc, s6, v128
	ds_read_b128 v[0:3], v240 offset:46400
	s_nop 0
	v_addc_co_u32_e32 v5, vcc, 0, v129, vcc
	global_load_dwordx4 v[4:7], v[4:5], off offset:192
	ds_write_b128 v240, v[8:11] offset:41600
	s_waitcnt vmcnt(0) lgkmcnt(1)
	v_mul_f64 v[8:9], v[2:3], v[6:7]
	v_mul_f64 v[10:11], v[0:1], v[6:7]
	v_fma_f64 v[8:9], v[0:1], v[4:5], -v[8:9]
	v_fmac_f64_e32 v[10:11], v[2:3], v[4:5]
	ds_write_b128 v240, v[8:11] offset:46400
	s_waitcnt lgkmcnt(0)
	s_barrier
	ds_read_b128 v[64:67], v240
	ds_read_b128 v[84:87], v240 offset:4800
	ds_read_b128 v[104:107], v240 offset:9600
	;; [unrolled: 1-line block ×29, first 2 shown]
	s_waitcnt lgkmcnt(14)
	v_add_f64 v[120:121], v[64:65], v[104:105]
	v_add_f64 v[120:121], v[120:121], v[108:109]
	;; [unrolled: 1-line block ×5, first 2 shown]
	v_fma_f64 v[124:125], -0.5, v[120:121], v[64:65]
	v_add_f64 v[120:121], v[106:107], -v[118:119]
	v_fma_f64 v[134:135], s[10:11], v[120:121], v[124:125]
	v_add_f64 v[122:123], v[110:111], -v[114:115]
	v_add_f64 v[126:127], v[104:105], -v[108:109]
	;; [unrolled: 1-line block ×3, first 2 shown]
	v_fmac_f64_e32 v[124:125], s[4:5], v[120:121]
	v_fmac_f64_e32 v[134:135], s[12:13], v[122:123]
	v_add_f64 v[126:127], v[126:127], v[128:129]
	v_fmac_f64_e32 v[124:125], s[2:3], v[122:123]
	v_fmac_f64_e32 v[134:135], s[8:9], v[126:127]
	;; [unrolled: 1-line block ×3, first 2 shown]
	v_add_f64 v[126:127], v[104:105], v[116:117]
	v_fmac_f64_e32 v[64:65], -0.5, v[126:127]
	v_fma_f64 v[250:251], s[4:5], v[122:123], v[64:65]
	v_fmac_f64_e32 v[64:65], s[10:11], v[122:123]
	v_fmac_f64_e32 v[250:251], s[12:13], v[120:121]
	;; [unrolled: 1-line block ×3, first 2 shown]
	v_add_f64 v[120:121], v[66:67], v[106:107]
	v_add_f64 v[120:121], v[120:121], v[110:111]
	v_add_f64 v[126:127], v[108:109], -v[104:105]
	v_add_f64 v[128:129], v[112:113], -v[116:117]
	v_add_f64 v[120:121], v[120:121], v[114:115]
	v_add_f64 v[126:127], v[126:127], v[128:129]
	;; [unrolled: 1-line block ×4, first 2 shown]
	v_fmac_f64_e32 v[250:251], s[8:9], v[126:127]
	v_fmac_f64_e32 v[64:65], s[8:9], v[126:127]
	v_fma_f64 v[126:127], -0.5, v[120:121], v[66:67]
	v_add_f64 v[104:105], v[104:105], -v[116:117]
	v_fma_f64 v[130:131], s[4:5], v[104:105], v[126:127]
	v_add_f64 v[108:109], v[108:109], -v[112:113]
	v_add_f64 v[112:113], v[106:107], -v[110:111]
	;; [unrolled: 1-line block ×3, first 2 shown]
	v_fmac_f64_e32 v[126:127], s[10:11], v[104:105]
	v_fmac_f64_e32 v[130:131], s[2:3], v[108:109]
	v_add_f64 v[112:113], v[112:113], v[116:117]
	v_fmac_f64_e32 v[126:127], s[12:13], v[108:109]
	v_fmac_f64_e32 v[130:131], s[8:9], v[112:113]
	v_fmac_f64_e32 v[126:127], s[8:9], v[112:113]
	v_add_f64 v[112:113], v[106:107], v[118:119]
	v_fmac_f64_e32 v[66:67], -0.5, v[112:113]
	v_fma_f64 v[158:159], s[10:11], v[108:109], v[66:67]
	v_fmac_f64_e32 v[66:67], s[4:5], v[108:109]
	v_fmac_f64_e32 v[158:159], s[2:3], v[104:105]
	;; [unrolled: 1-line block ×3, first 2 shown]
	v_add_f64 v[104:105], v[84:85], v[88:89]
	v_add_f64 v[104:105], v[104:105], v[92:93]
	;; [unrolled: 1-line block ×3, first 2 shown]
	v_add_f64 v[106:107], v[110:111], -v[106:107]
	v_add_f64 v[110:111], v[114:115], -v[118:119]
	v_add_f64 v[136:137], v[104:105], v[100:101]
	v_add_f64 v[104:105], v[92:93], v[96:97]
	;; [unrolled: 1-line block ×3, first 2 shown]
	v_fma_f64 v[110:111], -0.5, v[104:105], v[84:85]
	v_add_f64 v[104:105], v[90:91], -v[102:103]
	v_fmac_f64_e32 v[158:159], s[8:9], v[106:107]
	v_fmac_f64_e32 v[66:67], s[8:9], v[106:107]
	v_fma_f64 v[106:107], s[10:11], v[104:105], v[110:111]
	v_add_f64 v[108:109], v[94:95], -v[98:99]
	v_add_f64 v[112:113], v[88:89], -v[92:93]
	;; [unrolled: 1-line block ×3, first 2 shown]
	v_fmac_f64_e32 v[110:111], s[4:5], v[104:105]
	v_fmac_f64_e32 v[106:107], s[12:13], v[108:109]
	v_add_f64 v[112:113], v[112:113], v[114:115]
	v_fmac_f64_e32 v[110:111], s[2:3], v[108:109]
	v_fmac_f64_e32 v[106:107], s[8:9], v[112:113]
	;; [unrolled: 1-line block ×3, first 2 shown]
	v_add_f64 v[112:113], v[88:89], v[100:101]
	v_fmac_f64_e32 v[84:85], -0.5, v[112:113]
	v_fma_f64 v[122:123], s[4:5], v[108:109], v[84:85]
	v_fmac_f64_e32 v[84:85], s[10:11], v[108:109]
	v_fmac_f64_e32 v[122:123], s[12:13], v[104:105]
	;; [unrolled: 1-line block ×3, first 2 shown]
	v_add_f64 v[104:105], v[86:87], v[90:91]
	v_add_f64 v[104:105], v[104:105], v[94:95]
	;; [unrolled: 1-line block ×5, first 2 shown]
	v_add_f64 v[112:113], v[92:93], -v[88:89]
	v_fma_f64 v[252:253], -0.5, v[104:105], v[86:87]
	v_add_f64 v[88:89], v[88:89], -v[100:101]
	v_add_f64 v[114:115], v[96:97], -v[100:101]
	v_fma_f64 v[100:101], s[4:5], v[88:89], v[252:253]
	v_add_f64 v[92:93], v[92:93], -v[96:97]
	v_add_f64 v[96:97], v[90:91], -v[94:95]
	;; [unrolled: 1-line block ×3, first 2 shown]
	v_fmac_f64_e32 v[252:253], s[10:11], v[88:89]
	v_fmac_f64_e32 v[100:101], s[2:3], v[92:93]
	v_add_f64 v[96:97], v[96:97], v[104:105]
	v_fmac_f64_e32 v[252:253], s[12:13], v[92:93]
	v_fmac_f64_e32 v[100:101], s[8:9], v[96:97]
	;; [unrolled: 1-line block ×3, first 2 shown]
	v_add_f64 v[96:97], v[90:91], v[102:103]
	v_fmac_f64_e32 v[86:87], -0.5, v[96:97]
	v_fma_f64 v[96:97], s[10:11], v[92:93], v[86:87]
	v_add_f64 v[90:91], v[94:95], -v[90:91]
	v_add_f64 v[94:95], v[98:99], -v[102:103]
	v_fmac_f64_e32 v[86:87], s[4:5], v[92:93]
	v_add_f64 v[90:91], v[90:91], v[94:95]
	v_fmac_f64_e32 v[86:87], s[12:13], v[88:89]
	v_add_f64 v[112:113], v[112:113], v[114:115]
	v_fmac_f64_e32 v[86:87], s[8:9], v[90:91]
	v_fmac_f64_e32 v[84:85], s[8:9], v[112:113]
	v_mul_f64 v[94:95], v[86:87], s[10:11]
	v_fmac_f64_e32 v[94:95], s[16:17], v[84:85]
	v_mul_f64 v[86:87], v[86:87], s[16:17]
	v_add_f64 v[104:105], v[64:65], v[94:95]
	v_fmac_f64_e32 v[86:87], s[4:5], v[84:85]
	v_add_f64 v[84:85], v[64:65], -v[94:95]
	v_add_f64 v[64:65], v[4:5], v[68:69]
	v_fmac_f64_e32 v[96:97], s[2:3], v[88:89]
	v_mul_f64 v[88:89], v[100:101], s[12:13]
	v_mul_f64 v[98:99], v[252:253], s[12:13]
	;; [unrolled: 1-line block ×3, first 2 shown]
	v_add_f64 v[64:65], v[64:65], v[72:73]
	v_fmac_f64_e32 v[96:97], s[8:9], v[90:91]
	v_fmac_f64_e32 v[88:89], s[18:19], v[106:107]
	;; [unrolled: 1-line block ×4, first 2 shown]
	s_waitcnt lgkmcnt(13)
	v_add_f64 v[64:65], v[64:65], v[76:77]
	v_fmac_f64_e32 v[122:123], s[8:9], v[112:113]
	v_add_f64 v[116:117], v[134:135], v[88:89]
	v_mul_f64 v[90:91], v[96:97], s[10:11]
	v_add_f64 v[108:109], v[124:125], v[98:99]
	v_add_f64 v[118:119], v[130:131], v[102:103]
	v_mul_f64 v[142:143], v[96:97], s[8:9]
	v_mul_f64 v[164:165], v[252:253], s[14:15]
	v_add_f64 v[96:97], v[134:135], -v[88:89]
	v_add_f64 v[88:89], v[124:125], -v[98:99]
	;; [unrolled: 1-line block ×3, first 2 shown]
	s_waitcnt lgkmcnt(11)
	v_add_f64 v[130:131], v[64:65], v[16:17]
	v_add_f64 v[64:65], v[72:73], v[76:77]
	v_fmac_f64_e32 v[90:91], s[8:9], v[122:123]
	v_fmac_f64_e32 v[164:165], s[2:3], v[110:111]
	v_fma_f64 v[124:125], -0.5, v[64:65], v[4:5]
	v_add_f64 v[64:65], v[70:71], -v[18:19]
	v_add_f64 v[112:113], v[132:133], v[136:137]
	v_add_f64 v[120:121], v[250:251], v[90:91]
	;; [unrolled: 1-line block ×5, first 2 shown]
	v_add_f64 v[92:93], v[132:133], -v[136:137]
	v_add_f64 v[100:101], v[250:251], -v[90:91]
	;; [unrolled: 1-line block ×5, first 2 shown]
	v_fma_f64 v[132:133], s[10:11], v[64:65], v[124:125]
	v_add_f64 v[66:67], v[74:75], -v[78:79]
	v_add_f64 v[126:127], v[68:69], -v[72:73]
	;; [unrolled: 1-line block ×3, first 2 shown]
	v_fmac_f64_e32 v[124:125], s[4:5], v[64:65]
	v_fmac_f64_e32 v[132:133], s[12:13], v[66:67]
	v_add_f64 v[126:127], v[126:127], v[128:129]
	v_fmac_f64_e32 v[124:125], s[2:3], v[66:67]
	v_fmac_f64_e32 v[132:133], s[8:9], v[126:127]
	;; [unrolled: 1-line block ×3, first 2 shown]
	v_add_f64 v[126:127], v[68:69], v[16:17]
	v_fmac_f64_e32 v[4:5], -0.5, v[126:127]
	v_fma_f64 v[136:137], s[4:5], v[66:67], v[4:5]
	v_fmac_f64_e32 v[4:5], s[10:11], v[66:67]
	v_fmac_f64_e32 v[136:137], s[12:13], v[64:65]
	;; [unrolled: 1-line block ×3, first 2 shown]
	v_add_f64 v[64:65], v[6:7], v[70:71]
	v_add_f64 v[64:65], v[64:65], v[74:75]
	v_add_f64 v[126:127], v[72:73], -v[68:69]
	v_add_f64 v[128:129], v[76:77], -v[16:17]
	v_add_f64 v[64:65], v[64:65], v[78:79]
	v_add_f64 v[126:127], v[126:127], v[128:129]
	;; [unrolled: 1-line block ×4, first 2 shown]
	v_fmac_f64_e32 v[136:137], s[8:9], v[126:127]
	v_fmac_f64_e32 v[4:5], s[8:9], v[126:127]
	v_fma_f64 v[126:127], -0.5, v[64:65], v[6:7]
	v_add_f64 v[64:65], v[68:69], -v[16:17]
	v_fma_f64 v[16:17], s[4:5], v[64:65], v[126:127]
	v_add_f64 v[66:67], v[72:73], -v[76:77]
	v_add_f64 v[68:69], v[70:71], -v[74:75]
	;; [unrolled: 1-line block ×3, first 2 shown]
	v_fmac_f64_e32 v[126:127], s[10:11], v[64:65]
	v_fmac_f64_e32 v[16:17], s[2:3], v[66:67]
	v_add_f64 v[68:69], v[68:69], v[72:73]
	v_fmac_f64_e32 v[126:127], s[12:13], v[66:67]
	v_fmac_f64_e32 v[16:17], s[8:9], v[68:69]
	;; [unrolled: 1-line block ×3, first 2 shown]
	v_add_f64 v[68:69], v[70:71], v[18:19]
	v_fmac_f64_e32 v[6:7], -0.5, v[68:69]
	v_fma_f64 v[134:135], s[10:11], v[66:67], v[6:7]
	v_fmac_f64_e32 v[6:7], s[4:5], v[66:67]
	v_fmac_f64_e32 v[134:135], s[2:3], v[64:65]
	v_fmac_f64_e32 v[6:7], s[12:13], v[64:65]
	v_add_f64 v[64:65], v[52:53], v[56:57]
	v_add_f64 v[68:69], v[74:75], -v[70:71]
	v_add_f64 v[18:19], v[78:79], -v[18:19]
	v_fma_f64 v[66:67], -0.5, v[64:65], v[0:1]
	s_waitcnt lgkmcnt(10)
	v_add_f64 v[64:65], v[50:51], -v[62:63]
	v_add_f64 v[18:19], v[68:69], v[18:19]
	v_fma_f64 v[74:75], s[10:11], v[64:65], v[66:67]
	v_add_f64 v[68:69], v[54:55], -v[58:59]
	v_add_f64 v[70:71], v[48:49], -v[52:53]
	;; [unrolled: 1-line block ×3, first 2 shown]
	v_fmac_f64_e32 v[66:67], s[4:5], v[64:65]
	v_fmac_f64_e32 v[74:75], s[12:13], v[68:69]
	v_add_f64 v[70:71], v[70:71], v[72:73]
	v_fmac_f64_e32 v[66:67], s[2:3], v[68:69]
	v_fmac_f64_e32 v[74:75], s[8:9], v[70:71]
	;; [unrolled: 1-line block ×3, first 2 shown]
	v_add_f64 v[70:71], v[48:49], v[60:61]
	v_fmac_f64_e32 v[134:135], s[8:9], v[18:19]
	v_fmac_f64_e32 v[6:7], s[8:9], v[18:19]
	v_add_f64 v[18:19], v[0:1], v[48:49]
	v_fmac_f64_e32 v[0:1], -0.5, v[70:71]
	v_fma_f64 v[78:79], s[4:5], v[68:69], v[0:1]
	v_fmac_f64_e32 v[0:1], s[10:11], v[68:69]
	v_fmac_f64_e32 v[78:79], s[12:13], v[64:65]
	;; [unrolled: 1-line block ×3, first 2 shown]
	v_add_f64 v[64:65], v[2:3], v[50:51]
	v_add_f64 v[64:65], v[64:65], v[54:55]
	;; [unrolled: 1-line block ×3, first 2 shown]
	v_fmac_f64_e32 v[142:143], s[4:5], v[122:123]
	v_add_f64 v[18:19], v[18:19], v[52:53]
	v_add_f64 v[138:139], v[64:65], v[62:63]
	;; [unrolled: 1-line block ×4, first 2 shown]
	v_add_f64 v[102:103], v[158:159], -v[142:143]
	v_add_f64 v[18:19], v[18:19], v[56:57]
	v_add_f64 v[70:71], v[52:53], -v[48:49]
	v_fma_f64 v[158:159], -0.5, v[64:65], v[2:3]
	v_add_f64 v[48:49], v[48:49], -v[60:61]
	v_add_f64 v[18:19], v[18:19], v[60:61]
	v_add_f64 v[72:73], v[56:57], -v[60:61]
	v_fma_f64 v[142:143], s[4:5], v[48:49], v[158:159]
	v_add_f64 v[52:53], v[52:53], -v[56:57]
	v_add_f64 v[56:57], v[50:51], -v[54:55]
	v_add_f64 v[60:61], v[62:63], -v[58:59]
	v_fmac_f64_e32 v[158:159], s[10:11], v[48:49]
	v_fmac_f64_e32 v[142:143], s[2:3], v[52:53]
	v_add_f64 v[56:57], v[56:57], v[60:61]
	v_fmac_f64_e32 v[158:159], s[12:13], v[52:53]
	v_fmac_f64_e32 v[142:143], s[8:9], v[56:57]
	;; [unrolled: 1-line block ×3, first 2 shown]
	v_add_f64 v[56:57], v[50:51], v[62:63]
	v_fmac_f64_e32 v[2:3], -0.5, v[56:57]
	v_fma_f64 v[56:57], s[10:11], v[52:53], v[2:3]
	v_add_f64 v[50:51], v[54:55], -v[50:51]
	v_add_f64 v[54:55], v[58:59], -v[62:63]
	v_fmac_f64_e32 v[56:57], s[2:3], v[48:49]
	v_add_f64 v[50:51], v[50:51], v[54:55]
	v_add_f64 v[70:71], v[70:71], v[72:73]
	v_fmac_f64_e32 v[56:57], s[8:9], v[50:51]
	v_fmac_f64_e32 v[2:3], s[4:5], v[52:53]
	;; [unrolled: 1-line block ×4, first 2 shown]
	v_mul_f64 v[54:55], v[56:57], s[10:11]
	v_mul_f64 v[178:179], v[74:75], s[2:3]
	v_fmac_f64_e32 v[2:3], s[8:9], v[50:51]
	v_mul_f64 v[50:51], v[142:143], s[12:13]
	v_fmac_f64_e32 v[54:55], s[8:9], v[78:79]
	v_fmac_f64_e32 v[178:179], s[18:19], v[142:143]
	;; [unrolled: 1-line block ×3, first 2 shown]
	v_add_f64 v[76:77], v[136:137], v[54:55]
	v_add_f64 v[74:75], v[16:17], v[178:179]
	v_mul_f64 v[142:143], v[56:57], s[8:9]
	v_add_f64 v[56:57], v[136:137], -v[54:55]
	v_add_f64 v[54:55], v[16:17], -v[178:179]
	s_waitcnt lgkmcnt(7)
	v_add_f64 v[16:17], v[12:13], v[32:33]
	s_waitcnt lgkmcnt(5)
	v_add_f64 v[16:17], v[16:17], v[28:29]
	v_fmac_f64_e32 v[0:1], s[8:9], v[70:71]
	v_mul_f64 v[58:59], v[2:3], s[10:11]
	v_mul_f64 v[164:165], v[158:159], s[12:13]
	s_waitcnt lgkmcnt(3)
	v_add_f64 v[16:17], v[16:17], v[24:25]
	v_add_f64 v[72:73], v[132:133], v[50:51]
	v_fmac_f64_e32 v[58:59], s[16:17], v[0:1]
	v_fmac_f64_e32 v[164:165], s[14:15], v[66:67]
	v_mul_f64 v[2:3], v[2:3], s[16:17]
	v_mul_f64 v[158:159], v[158:159], s[14:15]
	v_add_f64 v[52:53], v[132:133], -v[50:51]
	s_waitcnt lgkmcnt(1)
	v_add_f64 v[132:133], v[16:17], v[20:21]
	v_add_f64 v[16:17], v[28:29], v[24:25]
	;; [unrolled: 1-line block ×4, first 2 shown]
	v_fmac_f64_e32 v[142:143], s[4:5], v[78:79]
	v_fmac_f64_e32 v[2:3], s[4:5], v[0:1]
	;; [unrolled: 1-line block ×3, first 2 shown]
	v_add_f64 v[0:1], v[4:5], -v[58:59]
	v_add_f64 v[4:5], v[124:125], -v[164:165]
	v_fma_f64 v[124:125], -0.5, v[16:17], v[12:13]
	v_add_f64 v[16:17], v[34:35], -v[22:23]
	v_add_f64 v[68:69], v[130:131], v[18:19]
	v_add_f64 v[70:71], v[128:129], v[138:139]
	;; [unrolled: 1-line block ×5, first 2 shown]
	v_add_f64 v[48:49], v[130:131], -v[18:19]
	v_add_f64 v[50:51], v[128:129], -v[138:139]
	;; [unrolled: 1-line block ×5, first 2 shown]
	v_fma_f64 v[134:135], s[10:11], v[16:17], v[124:125]
	v_add_f64 v[18:19], v[30:31], -v[26:27]
	v_add_f64 v[126:127], v[32:33], -v[28:29]
	;; [unrolled: 1-line block ×3, first 2 shown]
	v_fmac_f64_e32 v[124:125], s[4:5], v[16:17]
	v_fmac_f64_e32 v[134:135], s[12:13], v[18:19]
	v_add_f64 v[126:127], v[126:127], v[128:129]
	v_fmac_f64_e32 v[124:125], s[2:3], v[18:19]
	v_fmac_f64_e32 v[134:135], s[8:9], v[126:127]
	;; [unrolled: 1-line block ×3, first 2 shown]
	v_add_f64 v[126:127], v[32:33], v[20:21]
	v_fmac_f64_e32 v[12:13], -0.5, v[126:127]
	v_fma_f64 v[138:139], s[4:5], v[18:19], v[12:13]
	v_fmac_f64_e32 v[12:13], s[10:11], v[18:19]
	v_fmac_f64_e32 v[138:139], s[12:13], v[16:17]
	;; [unrolled: 1-line block ×3, first 2 shown]
	v_add_f64 v[16:17], v[14:15], v[34:35]
	v_add_f64 v[16:17], v[16:17], v[30:31]
	v_add_f64 v[126:127], v[28:29], -v[32:33]
	v_add_f64 v[128:129], v[24:25], -v[20:21]
	v_add_f64 v[16:17], v[16:17], v[26:27]
	v_add_f64 v[126:127], v[126:127], v[128:129]
	;; [unrolled: 1-line block ×4, first 2 shown]
	v_fmac_f64_e32 v[138:139], s[8:9], v[126:127]
	v_fmac_f64_e32 v[12:13], s[8:9], v[126:127]
	v_fma_f64 v[126:127], -0.5, v[16:17], v[14:15]
	v_add_f64 v[16:17], v[32:33], -v[20:21]
	v_fma_f64 v[130:131], s[4:5], v[16:17], v[126:127]
	v_add_f64 v[18:19], v[28:29], -v[24:25]
	v_add_f64 v[20:21], v[34:35], -v[30:31]
	;; [unrolled: 1-line block ×3, first 2 shown]
	v_fmac_f64_e32 v[126:127], s[10:11], v[16:17]
	v_fmac_f64_e32 v[130:131], s[2:3], v[18:19]
	v_add_f64 v[20:21], v[20:21], v[24:25]
	v_fmac_f64_e32 v[126:127], s[12:13], v[18:19]
	v_fmac_f64_e32 v[130:131], s[8:9], v[20:21]
	;; [unrolled: 1-line block ×3, first 2 shown]
	v_add_f64 v[20:21], v[34:35], v[22:23]
	v_fmac_f64_e32 v[14:15], -0.5, v[20:21]
	v_fma_f64 v[136:137], s[10:11], v[18:19], v[14:15]
	v_fmac_f64_e32 v[14:15], s[4:5], v[18:19]
	v_fmac_f64_e32 v[136:137], s[2:3], v[16:17]
	;; [unrolled: 1-line block ×3, first 2 shown]
	v_add_f64 v[16:17], v[8:9], v[80:81]
	v_add_f64 v[16:17], v[16:17], v[44:45]
	;; [unrolled: 1-line block ×3, first 2 shown]
	v_add_f64 v[20:21], v[30:31], -v[34:35]
	v_add_f64 v[22:23], v[26:27], -v[22:23]
	s_waitcnt lgkmcnt(0)
	v_add_f64 v[158:159], v[16:17], v[36:37]
	v_add_f64 v[16:17], v[44:45], v[40:41]
	;; [unrolled: 1-line block ×3, first 2 shown]
	v_fma_f64 v[30:31], -0.5, v[16:17], v[8:9]
	v_add_f64 v[16:17], v[82:83], -v[38:39]
	v_fmac_f64_e32 v[136:137], s[8:9], v[20:21]
	v_fmac_f64_e32 v[14:15], s[8:9], v[20:21]
	v_fma_f64 v[18:19], s[10:11], v[16:17], v[30:31]
	v_add_f64 v[20:21], v[46:47], -v[42:43]
	v_add_f64 v[22:23], v[80:81], -v[44:45]
	;; [unrolled: 1-line block ×3, first 2 shown]
	v_fmac_f64_e32 v[30:31], s[4:5], v[16:17]
	v_fmac_f64_e32 v[18:19], s[12:13], v[20:21]
	v_add_f64 v[22:23], v[22:23], v[24:25]
	v_fmac_f64_e32 v[30:31], s[2:3], v[20:21]
	v_fmac_f64_e32 v[18:19], s[8:9], v[22:23]
	;; [unrolled: 1-line block ×3, first 2 shown]
	v_add_f64 v[22:23], v[80:81], v[36:37]
	v_fmac_f64_e32 v[8:9], -0.5, v[22:23]
	v_fma_f64 v[34:35], s[4:5], v[20:21], v[8:9]
	v_fmac_f64_e32 v[8:9], s[10:11], v[20:21]
	v_fmac_f64_e32 v[34:35], s[12:13], v[16:17]
	;; [unrolled: 1-line block ×3, first 2 shown]
	v_add_f64 v[16:17], v[10:11], v[82:83]
	v_add_f64 v[16:17], v[16:17], v[46:47]
	;; [unrolled: 1-line block ×3, first 2 shown]
	v_add_f64 v[22:23], v[44:45], -v[80:81]
	v_add_f64 v[24:25], v[40:41], -v[36:37]
	v_add_f64 v[250:251], v[16:17], v[38:39]
	v_add_f64 v[16:17], v[46:47], v[42:43]
	;; [unrolled: 1-line block ×3, first 2 shown]
	v_fma_f64 v[246:247], -0.5, v[16:17], v[10:11]
	v_add_f64 v[16:17], v[80:81], -v[36:37]
	v_fmac_f64_e32 v[34:35], s[8:9], v[22:23]
	v_fmac_f64_e32 v[8:9], s[8:9], v[22:23]
	v_fma_f64 v[22:23], s[4:5], v[16:17], v[246:247]
	v_add_f64 v[20:21], v[44:45], -v[40:41]
	v_add_f64 v[24:25], v[82:83], -v[46:47]
	;; [unrolled: 1-line block ×3, first 2 shown]
	v_fmac_f64_e32 v[246:247], s[10:11], v[16:17]
	v_fmac_f64_e32 v[22:23], s[2:3], v[20:21]
	v_add_f64 v[24:25], v[24:25], v[26:27]
	v_fmac_f64_e32 v[246:247], s[12:13], v[20:21]
	v_fmac_f64_e32 v[22:23], s[8:9], v[24:25]
	;; [unrolled: 1-line block ×3, first 2 shown]
	v_add_f64 v[24:25], v[82:83], v[38:39]
	v_fmac_f64_e32 v[10:11], -0.5, v[24:25]
	v_fma_f64 v[36:37], s[10:11], v[20:21], v[10:11]
	v_add_f64 v[24:25], v[46:47], -v[82:83]
	v_add_f64 v[26:27], v[42:43], -v[38:39]
	v_fmac_f64_e32 v[10:11], s[4:5], v[20:21]
	v_fmac_f64_e32 v[36:37], s[2:3], v[16:17]
	v_add_f64 v[24:25], v[24:25], v[26:27]
	v_fmac_f64_e32 v[10:11], s[12:13], v[16:17]
	v_fmac_f64_e32 v[36:37], s[8:9], v[24:25]
	;; [unrolled: 1-line block ×3, first 2 shown]
	v_mul_f64 v[38:39], v[22:23], s[12:13]
	v_mul_f64 v[42:43], v[36:37], s[10:11]
	;; [unrolled: 1-line block ×8, first 2 shown]
	v_fmac_f64_e32 v[38:39], s[18:19], v[18:19]
	v_fmac_f64_e32 v[42:43], s[8:9], v[34:35]
	;; [unrolled: 1-line block ×8, first 2 shown]
	v_add_f64 v[24:25], v[132:133], v[158:159]
	v_add_f64 v[20:21], v[134:135], v[38:39]
	;; [unrolled: 1-line block ×10, first 2 shown]
	v_add_f64 v[40:41], v[132:133], -v[158:159]
	v_add_f64 v[36:37], v[134:135], -v[38:39]
	;; [unrolled: 1-line block ×10, first 2 shown]
	s_barrier
	ds_write_b128 v245, v[112:115]
	ds_write_b128 v245, v[116:119] offset:16
	ds_write_b128 v245, v[120:123] offset:32
	ds_write_b128 v245, v[104:107] offset:48
	ds_write_b128 v245, v[108:111] offset:64
	ds_write_b128 v245, v[92:95] offset:80
	ds_write_b128 v245, v[96:99] offset:96
	ds_write_b128 v245, v[100:103] offset:112
	ds_write_b128 v245, v[84:87] offset:128
	ds_write_b128 v245, v[88:91] offset:144
	ds_write_b128 v244, v[68:71]
	ds_write_b128 v244, v[72:75] offset:16
	ds_write_b128 v244, v[76:79] offset:32
	ds_write_b128 v244, v[60:63] offset:48
	ds_write_b128 v244, v[64:67] offset:64
	ds_write_b128 v244, v[48:51] offset:80
	ds_write_b128 v244, v[52:55] offset:96
	ds_write_b128 v244, v[56:59] offset:112
	ds_write_b128 v244, v[0:3] offset:128
	ds_write_b128 v244, v[4:7] offset:144
	;; [unrolled: 10-line block ×3, first 2 shown]
	v_accvgpr_read_b32 v122, a128
	v_accvgpr_read_b32 v124, a130
	;; [unrolled: 1-line block ×3, first 2 shown]
	s_waitcnt lgkmcnt(0)
	s_barrier
	ds_read_b128 v[36:39], v240
	ds_read_b128 v[116:119], v240 offset:16000
	ds_read_b128 v[112:115], v240 offset:32000
	;; [unrolled: 1-line block ×29, first 2 shown]
	v_accvgpr_read_b32 v123, a129
	s_waitcnt lgkmcnt(14)
	v_mul_f64 v[120:121], v[124:125], v[118:119]
	v_fmac_f64_e32 v[120:121], v[122:123], v[116:117]
	v_mul_f64 v[116:117], v[124:125], v[116:117]
	v_fma_f64 v[122:123], v[122:123], v[118:119], -v[116:117]
	v_accvgpr_read_b32 v116, a124
	v_accvgpr_read_b32 v118, a126
	v_accvgpr_read_b32 v119, a127
	v_accvgpr_read_b32 v117, a125
	v_mul_f64 v[124:125], v[118:119], v[114:115]
	v_fmac_f64_e32 v[124:125], v[116:117], v[112:113]
	v_mul_f64 v[112:113], v[118:119], v[112:113]
	v_fma_f64 v[112:113], v[116:117], v[114:115], -v[112:113]
	v_accvgpr_read_b32 v114, a136
	v_accvgpr_read_b32 v116, a138
	v_accvgpr_read_b32 v117, a139
	v_accvgpr_read_b32 v115, a137
	v_mul_f64 v[126:127], v[116:117], v[110:111]
	v_fmac_f64_e32 v[126:127], v[114:115], v[108:109]
	v_mul_f64 v[108:109], v[116:117], v[108:109]
	v_fma_f64 v[128:129], v[114:115], v[110:111], -v[108:109]
	v_accvgpr_read_b32 v108, a132
	v_accvgpr_read_b32 v110, a134
	v_accvgpr_read_b32 v111, a135
	v_accvgpr_read_b32 v109, a133
	v_mul_f64 v[130:131], v[110:111], v[106:107]
	v_fmac_f64_e32 v[130:131], v[108:109], v[104:105]
	v_mul_f64 v[104:105], v[110:111], v[104:105]
	v_fma_f64 v[106:107], v[108:109], v[106:107], -v[104:105]
	v_accvgpr_read_b32 v108, a144
	v_accvgpr_read_b32 v110, a146
	v_accvgpr_read_b32 v111, a147
	v_accvgpr_read_b32 v109, a145
	v_mul_f64 v[132:133], v[110:111], v[102:103]
	v_fmac_f64_e32 v[132:133], v[108:109], v[100:101]
	v_mul_f64 v[100:101], v[110:111], v[100:101]
	v_fma_f64 v[134:135], v[108:109], v[102:103], -v[100:101]
	v_accvgpr_read_b32 v100, a140
	v_accvgpr_read_b32 v102, a142
	v_accvgpr_read_b32 v103, a143
	v_accvgpr_read_b32 v101, a141
	v_mul_f64 v[136:137], v[102:103], v[98:99]
	v_fmac_f64_e32 v[136:137], v[100:101], v[96:97]
	v_mul_f64 v[96:97], v[102:103], v[96:97]
	v_fma_f64 v[98:99], v[100:101], v[98:99], -v[96:97]
	v_accvgpr_read_b32 v100, a152
	v_accvgpr_read_b32 v102, a154
	v_accvgpr_read_b32 v103, a155
	v_accvgpr_read_b32 v101, a153
	v_mul_f64 v[138:139], v[102:103], v[94:95]
	v_fmac_f64_e32 v[138:139], v[100:101], v[92:93]
	v_mul_f64 v[92:93], v[102:103], v[92:93]
	v_fma_f64 v[142:143], v[100:101], v[94:95], -v[92:93]
	v_accvgpr_read_b32 v92, a148
	v_accvgpr_read_b32 v94, a150
	v_accvgpr_read_b32 v95, a151
	v_accvgpr_read_b32 v93, a149
	v_mul_f64 v[158:159], v[94:95], v[90:91]
	v_fmac_f64_e32 v[158:159], v[92:93], v[88:89]
	v_mul_f64 v[88:89], v[94:95], v[88:89]
	v_fma_f64 v[90:91], v[92:93], v[90:91], -v[88:89]
	v_accvgpr_read_b32 v92, a160
	v_accvgpr_read_b32 v94, a162
	v_accvgpr_read_b32 v95, a163
	v_accvgpr_read_b32 v93, a161
	v_mul_f64 v[164:165], v[94:95], v[86:87]
	v_fmac_f64_e32 v[164:165], v[92:93], v[84:85]
	v_mul_f64 v[84:85], v[94:95], v[84:85]
	v_fma_f64 v[178:179], v[92:93], v[86:87], -v[84:85]
	v_accvgpr_read_b32 v84, a156
	v_accvgpr_read_b32 v86, a158
	v_accvgpr_read_b32 v87, a159
	v_accvgpr_read_b32 v85, a157
	v_mul_f64 v[220:221], v[86:87], v[82:83]
	v_fmac_f64_e32 v[220:221], v[84:85], v[80:81]
	v_mul_f64 v[80:81], v[86:87], v[80:81]
	v_fma_f64 v[82:83], v[84:85], v[82:83], -v[80:81]
	v_accvgpr_read_b32 v84, a164
	v_accvgpr_read_b32 v86, a166
	v_accvgpr_read_b32 v87, a167
	v_accvgpr_read_b32 v85, a165
	s_waitcnt lgkmcnt(13)
	v_mul_f64 v[230:231], v[86:87], v[78:79]
	v_fmac_f64_e32 v[230:231], v[84:85], v[76:77]
	v_mul_f64 v[76:77], v[86:87], v[76:77]
	v_fma_f64 v[244:245], v[84:85], v[78:79], -v[76:77]
	v_accvgpr_read_b32 v76, a168
	v_accvgpr_read_b32 v78, a170
	v_accvgpr_read_b32 v79, a171
	v_accvgpr_read_b32 v77, a169
	s_waitcnt lgkmcnt(12)
	v_mul_f64 v[246:247], v[78:79], v[74:75]
	v_fmac_f64_e32 v[246:247], v[76:77], v[72:73]
	v_mul_f64 v[72:73], v[78:79], v[72:73]
	v_fma_f64 v[74:75], v[76:77], v[74:75], -v[72:73]
	v_accvgpr_read_b32 v76, a172
	v_accvgpr_read_b32 v78, a174
	v_accvgpr_read_b32 v79, a175
	v_accvgpr_read_b32 v77, a173
	;; [unrolled: 9-line block ×9, first 2 shown]
	s_waitcnt lgkmcnt(0)
	v_mul_f64 v[62:63], v[70:71], v[54:55]
	v_fmac_f64_e32 v[62:63], v[68:69], v[52:53]
	v_mul_f64 v[52:53], v[70:71], v[52:53]
	v_fma_f64 v[52:53], v[68:69], v[54:55], -v[52:53]
	v_add_f64 v[54:55], v[36:37], v[120:121]
	v_add_f64 v[116:117], v[54:55], v[124:125]
	v_add_f64 v[54:55], v[120:121], v[124:125]
	v_fmac_f64_e32 v[36:37], -0.5, v[54:55]
	v_add_f64 v[54:55], v[122:123], -v[112:113]
	v_fma_f64 v[108:109], s[22:23], v[54:55], v[36:37]
	v_fmac_f64_e32 v[36:37], s[20:21], v[54:55]
	v_add_f64 v[54:55], v[38:39], v[122:123]
	v_add_f64 v[118:119], v[54:55], v[112:113]
	v_add_f64 v[54:55], v[122:123], v[112:113]
	v_fmac_f64_e32 v[38:39], -0.5, v[54:55]
	v_add_f64 v[54:55], v[120:121], -v[124:125]
	v_fma_f64 v[110:111], s[20:21], v[54:55], v[38:39]
	v_fmac_f64_e32 v[38:39], s[22:23], v[54:55]
	;; [unrolled: 7-line block ×20, first 2 shown]
	s_barrier
	scratch_load_dword v52, off, off offset:12 ; 4-byte Folded Reload
	s_waitcnt vmcnt(0)
	ds_write_b128 v52, v[116:119]
	ds_write_b128 v52, v[108:111] offset:160
	ds_write_b128 v52, v[36:39] offset:320
	scratch_load_dword v36, off, off        ; 4-byte Folded Reload
	s_waitcnt vmcnt(0)
	ds_write_b128 v36, v[112:115]
	ds_write_b128 v36, v[104:107] offset:160
	ds_write_b128 v36, v[32:35] offset:320
	scratch_load_dword v32, off, off offset:4 ; 4-byte Folded Reload
	s_waitcnt vmcnt(0)
	ds_write_b128 v32, v[100:103]
	ds_write_b128 v32, v[96:99] offset:160
	ds_write_b128 v32, v[28:31] offset:320
	scratch_load_dword v28, off, off offset:8 ; 4-byte Folded Reload
	;; [unrolled: 5-line block ×5, first 2 shown]
	s_waitcnt vmcnt(0)
	ds_write_b128 v16, v[68:71]
	ds_write_b128 v16, v[120:123] offset:160
	ds_write_b128 v16, v[12:15] offset:320
	ds_write_b128 v249, v[128:131]
	ds_write_b128 v249, v[124:127] offset:160
	ds_write_b128 v249, v[8:11] offset:320
	;; [unrolled: 3-line block ×4, first 2 shown]
	v_accvgpr_read_b32 v124, a212
	v_accvgpr_read_b32 v126, a214
	;; [unrolled: 1-line block ×3, first 2 shown]
	s_waitcnt lgkmcnt(0)
	s_barrier
	ds_read_b128 v[40:43], v240
	ds_read_b128 v[116:119], v240 offset:4800
	ds_read_b128 v[112:115], v240 offset:9600
	;; [unrolled: 1-line block ×29, first 2 shown]
	v_accvgpr_read_b32 v125, a213
	s_waitcnt lgkmcnt(14)
	v_mul_f64 v[122:123], v[126:127], v[118:119]
	v_fmac_f64_e32 v[122:123], v[124:125], v[116:117]
	v_mul_f64 v[116:117], v[126:127], v[116:117]
	v_fma_f64 v[124:125], v[124:125], v[118:119], -v[116:117]
	v_accvgpr_read_b32 v116, a216
	v_accvgpr_read_b32 v118, a218
	v_accvgpr_read_b32 v119, a219
	v_accvgpr_read_b32 v117, a217
	v_mul_f64 v[250:251], v[118:119], v[114:115]
	v_fmac_f64_e32 v[250:251], v[116:117], v[112:113]
	v_mul_f64 v[112:113], v[118:119], v[112:113]
	v_fma_f64 v[252:253], v[116:117], v[114:115], -v[112:113]
	v_accvgpr_read_b32 v112, a220
	v_accvgpr_read_b32 v114, a222
	v_accvgpr_read_b32 v115, a223
	v_accvgpr_read_b32 v113, a221
	;; [unrolled: 8-line block ×9, first 2 shown]
	v_mul_f64 v[80:81], v[92:93], v[86:87]
	v_mul_f64 v[82:83], v[92:93], v[84:85]
	v_fmac_f64_e32 v[80:81], v[90:91], v[84:85]
	v_fma_f64 v[82:83], v[90:91], v[86:87], -v[82:83]
	v_accvgpr_read_b32 v87, a31
	v_accvgpr_read_b32 v86, a30
	v_accvgpr_read_b32 v85, a29
	v_accvgpr_read_b32 v84, a28
	v_mul_f64 v[120:121], v[86:87], v[78:79]
	v_fmac_f64_e32 v[120:121], v[84:85], v[76:77]
	v_mul_f64 v[76:77], v[86:87], v[76:77]
	v_fma_f64 v[78:79], v[84:85], v[78:79], -v[76:77]
	v_accvgpr_read_b32 v87, a35
	v_accvgpr_read_b32 v86, a34
	v_accvgpr_read_b32 v85, a33
	v_accvgpr_read_b32 v84, a32
	v_mul_f64 v[76:77], v[86:87], v[74:75]
	v_fmac_f64_e32 v[76:77], v[84:85], v[72:73]
	v_mul_f64 v[72:73], v[86:87], v[72:73]
	;; [unrolled: 8-line block ×4, first 2 shown]
	v_fma_f64 v[64:65], v[84:85], v[66:67], -v[64:65]
	v_accvgpr_read_b32 v87, a63
	v_accvgpr_read_b32 v86, a62
	v_accvgpr_read_b32 v85, a61
	v_accvgpr_read_b32 v84, a60
	s_waitcnt lgkmcnt(13)
	v_mul_f64 v[66:67], v[86:87], v[62:63]
	v_fmac_f64_e32 v[66:67], v[84:85], v[60:61]
	v_mul_f64 v[60:61], v[86:87], v[60:61]
	v_fma_f64 v[62:63], v[84:85], v[62:63], -v[60:61]
	v_accvgpr_read_b32 v87, a75
	v_accvgpr_read_b32 v86, a74
	v_accvgpr_read_b32 v85, a73
	v_accvgpr_read_b32 v84, a72
	s_waitcnt lgkmcnt(12)
	v_mul_f64 v[60:61], v[86:87], v[58:59]
	v_fmac_f64_e32 v[60:61], v[84:85], v[56:57]
	v_mul_f64 v[56:57], v[86:87], v[56:57]
	v_fma_f64 v[56:57], v[84:85], v[58:59], -v[56:57]
	v_accvgpr_read_b32 v84, a244
	v_accvgpr_read_b32 v86, a246
	v_accvgpr_read_b32 v87, a247
	v_accvgpr_read_b32 v85, a245
	s_waitcnt lgkmcnt(11)
	v_mul_f64 v[58:59], v[86:87], v[54:55]
	v_fmac_f64_e32 v[58:59], v[84:85], v[52:53]
	v_mul_f64 v[52:53], v[86:87], v[52:53]
	v_fma_f64 v[54:55], v[84:85], v[54:55], -v[52:53]
	v_accvgpr_read_b32 v84, a240
	v_accvgpr_read_b32 v86, a242
	v_accvgpr_read_b32 v87, a243
	v_accvgpr_read_b32 v85, a241
	s_waitcnt lgkmcnt(10)
	v_mul_f64 v[52:53], v[86:87], v[50:51]
	v_fmac_f64_e32 v[52:53], v[84:85], v[48:49]
	v_mul_f64 v[48:49], v[86:87], v[48:49]
	v_fma_f64 v[48:49], v[84:85], v[50:51], -v[48:49]
	v_accvgpr_read_b32 v87, a55
	v_accvgpr_read_b32 v86, a54
	v_accvgpr_read_b32 v85, a53
	v_accvgpr_read_b32 v84, a52
	s_waitcnt lgkmcnt(8)
	v_mul_f64 v[98:99], v[86:87], v[46:47]
	v_fmac_f64_e32 v[98:99], v[84:85], v[44:45]
	v_mul_f64 v[44:45], v[86:87], v[44:45]
	v_fma_f64 v[102:103], v[84:85], v[46:47], -v[44:45]
	v_accvgpr_read_b32 v44, a68
	v_accvgpr_read_b32 v46, a70
	v_accvgpr_read_b32 v47, a71
	v_accvgpr_read_b32 v45, a69
	s_waitcnt lgkmcnt(7)
	v_mul_f64 v[112:113], v[46:47], v[38:39]
	v_fmac_f64_e32 v[112:113], v[44:45], v[36:37]
	v_mul_f64 v[36:37], v[46:47], v[36:37]
	v_fma_f64 v[104:105], v[44:45], v[38:39], -v[36:37]
	v_accvgpr_read_b32 v36, a80
	v_accvgpr_read_b32 v38, a82
	v_accvgpr_read_b32 v39, a83
	v_accvgpr_read_b32 v37, a81
	s_waitcnt lgkmcnt(6)
	v_mul_f64 v[92:93], v[38:39], v[34:35]
	v_fmac_f64_e32 v[92:93], v[36:37], v[32:33]
	v_mul_f64 v[32:33], v[38:39], v[32:33]
	v_fma_f64 v[84:85], v[36:37], v[34:35], -v[32:33]
	v_accvgpr_read_b32 v32, a204
	v_accvgpr_read_b32 v34, a206
	v_accvgpr_read_b32 v35, a207
	v_accvgpr_read_b32 v33, a205
	s_waitcnt lgkmcnt(5)
	v_mul_f64 v[114:115], v[34:35], v[30:31]
	v_fmac_f64_e32 v[114:115], v[32:33], v[28:29]
	v_mul_f64 v[28:29], v[34:35], v[28:29]
	v_fma_f64 v[106:107], v[32:33], v[30:31], -v[28:29]
	v_accvgpr_read_b32 v28, a76
	v_accvgpr_read_b32 v30, a78
	v_accvgpr_read_b32 v31, a79
	v_accvgpr_read_b32 v29, a77
	s_waitcnt lgkmcnt(4)
	v_mul_f64 v[94:95], v[30:31], v[26:27]
	v_fmac_f64_e32 v[94:95], v[28:29], v[24:25]
	v_mul_f64 v[24:25], v[30:31], v[24:25]
	v_fma_f64 v[86:87], v[28:29], v[26:27], -v[24:25]
	v_accvgpr_read_b32 v24, a252
	v_accvgpr_read_b32 v26, a254
	v_accvgpr_read_b32 v27, a255
	v_accvgpr_read_b32 v25, a253
	s_waitcnt lgkmcnt(3)
	v_mul_f64 v[116:117], v[26:27], v[22:23]
	v_fmac_f64_e32 v[116:117], v[24:25], v[20:21]
	v_mul_f64 v[20:21], v[26:27], v[20:21]
	v_fma_f64 v[108:109], v[24:25], v[22:23], -v[20:21]
	v_accvgpr_read_b32 v22, a248
	v_accvgpr_read_b32 v24, a250
	v_accvgpr_read_b32 v25, a251
	v_accvgpr_read_b32 v23, a249
	s_waitcnt lgkmcnt(2)
	v_mul_f64 v[20:21], v[24:25], v[18:19]
	v_fmac_f64_e32 v[20:21], v[22:23], v[16:17]
	v_mul_f64 v[16:17], v[24:25], v[16:17]
	v_fma_f64 v[16:17], v[22:23], v[18:19], -v[16:17]
	v_accvgpr_read_b32 v22, a236
	v_accvgpr_read_b32 v24, a238
	v_accvgpr_read_b32 v25, a239
	v_accvgpr_read_b32 v23, a237
	s_waitcnt lgkmcnt(1)
	v_mul_f64 v[118:119], v[24:25], v[14:15]
	v_fmac_f64_e32 v[118:119], v[22:23], v[12:13]
	v_mul_f64 v[12:13], v[24:25], v[12:13]
	v_fma_f64 v[110:111], v[22:23], v[14:15], -v[12:13]
	v_accvgpr_read_b32 v12, a232
	v_accvgpr_read_b32 v14, a234
	v_accvgpr_read_b32 v15, a235
	v_accvgpr_read_b32 v13, a233
	s_waitcnt lgkmcnt(0)
	v_mul_f64 v[100:101], v[14:15], v[10:11]
	v_fmac_f64_e32 v[100:101], v[12:13], v[8:9]
	v_mul_f64 v[8:9], v[14:15], v[8:9]
	v_fma_f64 v[90:91], v[12:13], v[10:11], -v[8:9]
	v_add_f64 v[8:9], v[40:41], v[250:251]
	v_add_f64 v[8:9], v[8:9], v[248:249]
	;; [unrolled: 1-line block ×5, first 2 shown]
	v_fma_f64 v[30:31], -0.5, v[8:9], v[40:41]
	v_add_f64 v[8:9], v[252:253], -v[88:89]
	v_fma_f64 v[32:33], s[10:11], v[8:9], v[30:31]
	v_add_f64 v[10:11], v[254:255], -v[96:97]
	v_add_f64 v[12:13], v[250:251], -v[248:249]
	;; [unrolled: 1-line block ×3, first 2 shown]
	v_fmac_f64_e32 v[30:31], s[4:5], v[8:9]
	v_fmac_f64_e32 v[32:33], s[12:13], v[10:11]
	v_add_f64 v[12:13], v[12:13], v[14:15]
	v_fmac_f64_e32 v[30:31], s[2:3], v[10:11]
	v_fmac_f64_e32 v[32:33], s[8:9], v[12:13]
	;; [unrolled: 1-line block ×3, first 2 shown]
	v_add_f64 v[12:13], v[250:251], v[244:245]
	v_fmac_f64_e32 v[40:41], -0.5, v[12:13]
	v_fma_f64 v[38:39], s[4:5], v[10:11], v[40:41]
	v_fmac_f64_e32 v[40:41], s[10:11], v[10:11]
	v_fmac_f64_e32 v[38:39], s[12:13], v[8:9]
	;; [unrolled: 1-line block ×3, first 2 shown]
	v_add_f64 v[8:9], v[42:43], v[252:253]
	v_add_f64 v[8:9], v[8:9], v[254:255]
	;; [unrolled: 1-line block ×3, first 2 shown]
	v_add_f64 v[12:13], v[248:249], -v[250:251]
	v_add_f64 v[14:15], v[246:247], -v[244:245]
	v_add_f64 v[34:35], v[8:9], v[88:89]
	v_add_f64 v[8:9], v[254:255], v[96:97]
	v_add_f64 v[12:13], v[12:13], v[14:15]
	v_fma_f64 v[50:51], -0.5, v[8:9], v[42:43]
	v_add_f64 v[8:9], v[250:251], -v[244:245]
	v_fmac_f64_e32 v[38:39], s[8:9], v[12:13]
	v_fmac_f64_e32 v[40:41], s[8:9], v[12:13]
	v_fma_f64 v[46:47], s[4:5], v[8:9], v[50:51]
	v_add_f64 v[10:11], v[248:249], -v[246:247]
	v_add_f64 v[12:13], v[252:253], -v[254:255]
	v_add_f64 v[14:15], v[88:89], -v[96:97]
	v_fmac_f64_e32 v[50:51], s[10:11], v[8:9]
	v_fmac_f64_e32 v[46:47], s[2:3], v[10:11]
	v_add_f64 v[12:13], v[12:13], v[14:15]
	v_fmac_f64_e32 v[50:51], s[12:13], v[10:11]
	v_fmac_f64_e32 v[46:47], s[8:9], v[12:13]
	;; [unrolled: 1-line block ×3, first 2 shown]
	v_add_f64 v[12:13], v[252:253], v[88:89]
	v_fmac_f64_e32 v[42:43], -0.5, v[12:13]
	v_fma_f64 v[250:251], s[10:11], v[10:11], v[42:43]
	v_fmac_f64_e32 v[42:43], s[4:5], v[10:11]
	v_fmac_f64_e32 v[250:251], s[2:3], v[8:9]
	;; [unrolled: 1-line block ×3, first 2 shown]
	v_add_f64 v[8:9], v[122:123], v[134:135]
	v_add_f64 v[8:9], v[8:9], v[136:137]
	;; [unrolled: 1-line block ×3, first 2 shown]
	v_add_f64 v[12:13], v[254:255], -v[252:253]
	v_add_f64 v[14:15], v[96:97], -v[88:89]
	v_add_f64 v[36:37], v[8:9], v[158:159]
	v_add_f64 v[8:9], v[136:137], v[138:139]
	;; [unrolled: 1-line block ×3, first 2 shown]
	v_fma_f64 v[22:23], -0.5, v[8:9], v[122:123]
	v_add_f64 v[8:9], v[126:127], -v[132:133]
	v_fmac_f64_e32 v[250:251], s[8:9], v[12:13]
	v_fmac_f64_e32 v[42:43], s[8:9], v[12:13]
	v_fma_f64 v[10:11], s[10:11], v[8:9], v[22:23]
	v_add_f64 v[12:13], v[128:129], -v[130:131]
	v_add_f64 v[14:15], v[134:135], -v[136:137]
	;; [unrolled: 1-line block ×3, first 2 shown]
	v_fmac_f64_e32 v[22:23], s[4:5], v[8:9]
	v_fmac_f64_e32 v[10:11], s[12:13], v[12:13]
	v_add_f64 v[14:15], v[14:15], v[18:19]
	v_fmac_f64_e32 v[22:23], s[2:3], v[12:13]
	v_fmac_f64_e32 v[10:11], s[8:9], v[14:15]
	;; [unrolled: 1-line block ×3, first 2 shown]
	v_add_f64 v[14:15], v[134:135], v[158:159]
	v_fmac_f64_e32 v[122:123], -0.5, v[14:15]
	v_fma_f64 v[26:27], s[4:5], v[12:13], v[122:123]
	v_fmac_f64_e32 v[122:123], s[10:11], v[12:13]
	v_fmac_f64_e32 v[26:27], s[12:13], v[8:9]
	;; [unrolled: 1-line block ×3, first 2 shown]
	v_add_f64 v[8:9], v[124:125], v[126:127]
	v_add_f64 v[8:9], v[8:9], v[128:129]
	v_add_f64 v[14:15], v[136:137], -v[134:135]
	v_add_f64 v[18:19], v[138:139], -v[158:159]
	v_add_f64 v[8:9], v[8:9], v[130:131]
	v_add_f64 v[14:15], v[14:15], v[18:19]
	;; [unrolled: 1-line block ×4, first 2 shown]
	v_fma_f64 v[44:45], -0.5, v[8:9], v[124:125]
	v_add_f64 v[8:9], v[134:135], -v[158:159]
	v_fmac_f64_e32 v[26:27], s[8:9], v[14:15]
	v_fmac_f64_e32 v[122:123], s[8:9], v[14:15]
	v_fma_f64 v[14:15], s[4:5], v[8:9], v[44:45]
	v_add_f64 v[12:13], v[136:137], -v[138:139]
	v_add_f64 v[24:25], v[126:127], -v[128:129]
	;; [unrolled: 1-line block ×3, first 2 shown]
	v_fmac_f64_e32 v[44:45], s[10:11], v[8:9]
	v_fmac_f64_e32 v[14:15], s[2:3], v[12:13]
	v_add_f64 v[24:25], v[24:25], v[88:89]
	v_fmac_f64_e32 v[44:45], s[12:13], v[12:13]
	v_fmac_f64_e32 v[14:15], s[8:9], v[24:25]
	;; [unrolled: 1-line block ×3, first 2 shown]
	v_add_f64 v[24:25], v[126:127], v[132:133]
	v_fmac_f64_e32 v[124:125], -0.5, v[24:25]
	v_fma_f64 v[88:89], s[10:11], v[12:13], v[124:125]
	v_add_f64 v[24:25], v[128:129], -v[126:127]
	v_add_f64 v[96:97], v[130:131], -v[132:133]
	v_fmac_f64_e32 v[88:89], s[2:3], v[8:9]
	v_add_f64 v[24:25], v[24:25], v[96:97]
	v_fmac_f64_e32 v[88:89], s[8:9], v[24:25]
	v_fmac_f64_e32 v[124:125], s[4:5], v[12:13]
	v_mul_f64 v[126:127], v[88:89], s[10:11]
	v_fmac_f64_e32 v[124:125], s[12:13], v[8:9]
	v_fmac_f64_e32 v[126:127], s[8:9], v[26:27]
	;; [unrolled: 1-line block ×3, first 2 shown]
	v_add_f64 v[252:253], v[28:29], v[36:37]
	v_add_f64 v[8:9], v[38:39], v[126:127]
	;; [unrolled: 1-line block ×3, first 2 shown]
	v_add_f64 v[36:37], v[28:29], -v[36:37]
	v_add_f64 v[28:29], v[38:39], -v[126:127]
	;; [unrolled: 1-line block ×3, first 2 shown]
	v_add_f64 v[18:19], v[4:5], v[120:121]
	v_mul_f64 v[128:129], v[124:125], s[10:11]
	v_mul_f64 v[132:133], v[14:15], s[18:19]
	;; [unrolled: 1-line block ×3, first 2 shown]
	v_add_f64 v[18:19], v[18:19], v[74:75]
	v_fmac_f64_e32 v[128:129], s[16:17], v[122:123]
	v_fmac_f64_e32 v[132:133], s[2:3], v[10:11]
	v_mul_f64 v[88:89], v[88:89], s[8:9]
	v_fmac_f64_e32 v[124:125], s[4:5], v[122:123]
	v_mul_f64 v[122:123], v[44:45], s[14:15]
	v_add_f64 v[18:19], v[18:19], v[66:67]
	v_mul_f64 v[96:97], v[14:15], s[12:13]
	v_mul_f64 v[130:131], v[44:45], s[12:13]
	v_add_f64 v[14:15], v[46:47], v[132:133]
	v_fmac_f64_e32 v[88:89], s[4:5], v[26:27]
	v_add_f64 v[26:27], v[42:43], v[124:125]
	v_fmac_f64_e32 v[122:123], s[2:3], v[22:23]
	v_add_f64 v[34:35], v[46:47], -v[132:133]
	v_add_f64 v[46:47], v[42:43], -v[124:125]
	v_add_f64 v[124:125], v[18:19], v[58:59]
	v_add_f64 v[18:19], v[74:75], v[66:67]
	v_fmac_f64_e32 v[130:131], s[14:15], v[22:23]
	v_add_f64 v[138:139], v[50:51], v[122:123]
	v_add_f64 v[42:43], v[50:51], -v[122:123]
	v_fma_f64 v[122:123], -0.5, v[18:19], v[4:5]
	v_add_f64 v[18:19], v[78:79], -v[54:55]
	v_fmac_f64_e32 v[96:97], s[18:19], v[10:11]
	v_add_f64 v[24:25], v[40:41], v[128:129]
	v_add_f64 v[136:137], v[30:31], v[130:131]
	;; [unrolled: 1-line block ×3, first 2 shown]
	v_add_f64 v[44:45], v[40:41], -v[128:129]
	v_add_f64 v[40:41], v[30:31], -v[130:131]
	;; [unrolled: 1-line block ×3, first 2 shown]
	v_fma_f64 v[126:127], s[10:11], v[18:19], v[122:123]
	v_add_f64 v[22:23], v[70:71], -v[62:63]
	v_add_f64 v[50:51], v[120:121], -v[74:75]
	;; [unrolled: 1-line block ×3, first 2 shown]
	v_fmac_f64_e32 v[122:123], s[4:5], v[18:19]
	v_fmac_f64_e32 v[126:127], s[12:13], v[22:23]
	v_add_f64 v[50:51], v[50:51], v[88:89]
	v_fmac_f64_e32 v[122:123], s[2:3], v[22:23]
	v_fmac_f64_e32 v[126:127], s[8:9], v[50:51]
	;; [unrolled: 1-line block ×3, first 2 shown]
	v_add_f64 v[50:51], v[120:121], v[58:59]
	v_fmac_f64_e32 v[4:5], -0.5, v[50:51]
	v_fma_f64 v[132:133], s[4:5], v[22:23], v[4:5]
	v_fmac_f64_e32 v[4:5], s[10:11], v[22:23]
	v_fmac_f64_e32 v[132:133], s[12:13], v[18:19]
	;; [unrolled: 1-line block ×3, first 2 shown]
	v_add_f64 v[18:19], v[6:7], v[78:79]
	v_add_f64 v[18:19], v[18:19], v[70:71]
	;; [unrolled: 1-line block ×3, first 2 shown]
	v_add_f64 v[50:51], v[74:75], -v[120:121]
	v_add_f64 v[88:89], v[66:67], -v[58:59]
	v_add_f64 v[128:129], v[18:19], v[54:55]
	v_add_f64 v[18:19], v[70:71], v[62:63]
	;; [unrolled: 1-line block ×3, first 2 shown]
	v_fma_f64 v[130:131], -0.5, v[18:19], v[6:7]
	v_add_f64 v[18:19], v[120:121], -v[58:59]
	v_fmac_f64_e32 v[132:133], s[8:9], v[50:51]
	v_fmac_f64_e32 v[4:5], s[8:9], v[50:51]
	v_fma_f64 v[120:121], s[4:5], v[18:19], v[130:131]
	v_add_f64 v[22:23], v[74:75], -v[66:67]
	v_add_f64 v[50:51], v[78:79], -v[70:71]
	;; [unrolled: 1-line block ×3, first 2 shown]
	v_fmac_f64_e32 v[130:131], s[10:11], v[18:19]
	v_fmac_f64_e32 v[120:121], s[2:3], v[22:23]
	v_add_f64 v[50:51], v[50:51], v[58:59]
	v_fmac_f64_e32 v[130:131], s[12:13], v[22:23]
	v_fmac_f64_e32 v[120:121], s[8:9], v[50:51]
	;; [unrolled: 1-line block ×3, first 2 shown]
	v_add_f64 v[50:51], v[78:79], v[54:55]
	v_fmac_f64_e32 v[6:7], -0.5, v[50:51]
	v_fma_f64 v[134:135], s[10:11], v[22:23], v[6:7]
	v_fmac_f64_e32 v[6:7], s[4:5], v[22:23]
	v_fmac_f64_e32 v[134:135], s[2:3], v[18:19]
	;; [unrolled: 1-line block ×3, first 2 shown]
	v_add_f64 v[18:19], v[80:81], v[76:77]
	v_add_f64 v[18:19], v[18:19], v[68:69]
	;; [unrolled: 1-line block ×3, first 2 shown]
	v_add_f64 v[50:51], v[70:71], -v[78:79]
	v_add_f64 v[54:55], v[62:63], -v[54:55]
	v_add_f64 v[70:71], v[18:19], v[52:53]
	v_add_f64 v[18:19], v[68:69], v[60:61]
	;; [unrolled: 1-line block ×3, first 2 shown]
	v_fma_f64 v[62:63], -0.5, v[18:19], v[80:81]
	v_add_f64 v[18:19], v[72:73], -v[48:49]
	v_fmac_f64_e32 v[134:135], s[8:9], v[50:51]
	v_fmac_f64_e32 v[6:7], s[8:9], v[50:51]
	v_fma_f64 v[22:23], s[10:11], v[18:19], v[62:63]
	v_add_f64 v[50:51], v[64:65], -v[56:57]
	v_add_f64 v[54:55], v[76:77], -v[68:69]
	;; [unrolled: 1-line block ×3, first 2 shown]
	v_fmac_f64_e32 v[62:63], s[4:5], v[18:19]
	v_fmac_f64_e32 v[22:23], s[12:13], v[50:51]
	v_add_f64 v[54:55], v[54:55], v[58:59]
	v_fmac_f64_e32 v[62:63], s[2:3], v[50:51]
	v_fmac_f64_e32 v[22:23], s[8:9], v[54:55]
	;; [unrolled: 1-line block ×3, first 2 shown]
	v_add_f64 v[54:55], v[76:77], v[52:53]
	v_fmac_f64_e32 v[80:81], -0.5, v[54:55]
	v_fma_f64 v[66:67], s[4:5], v[50:51], v[80:81]
	v_add_f64 v[54:55], v[68:69], -v[76:77]
	v_add_f64 v[58:59], v[60:61], -v[52:53]
	v_fmac_f64_e32 v[80:81], s[10:11], v[50:51]
	v_add_f64 v[50:51], v[64:65], v[56:57]
	v_fmac_f64_e32 v[66:67], s[12:13], v[18:19]
	v_add_f64 v[54:55], v[54:55], v[58:59]
	v_fmac_f64_e32 v[80:81], s[2:3], v[18:19]
	v_fma_f64 v[74:75], -0.5, v[50:51], v[82:83]
	v_add_f64 v[50:51], v[76:77], -v[52:53]
	v_fmac_f64_e32 v[66:67], s[8:9], v[54:55]
	v_fmac_f64_e32 v[80:81], s[8:9], v[54:55]
	v_fma_f64 v[54:55], s[4:5], v[50:51], v[74:75]
	v_add_f64 v[52:53], v[68:69], -v[60:61]
	v_add_f64 v[58:59], v[72:73], -v[64:65]
	;; [unrolled: 1-line block ×3, first 2 shown]
	v_fmac_f64_e32 v[74:75], s[10:11], v[50:51]
	v_add_f64 v[18:19], v[82:83], v[72:73]
	v_fmac_f64_e32 v[54:55], s[2:3], v[52:53]
	v_add_f64 v[58:59], v[58:59], v[60:61]
	;; [unrolled: 2-line block ×3, first 2 shown]
	v_fmac_f64_e32 v[54:55], s[8:9], v[58:59]
	v_fmac_f64_e32 v[74:75], s[8:9], v[58:59]
	v_add_f64 v[58:59], v[72:73], v[48:49]
	v_add_f64 v[18:19], v[18:19], v[56:57]
	v_fmac_f64_e32 v[82:83], -0.5, v[58:59]
	v_add_f64 v[18:19], v[18:19], v[48:49]
	v_fma_f64 v[68:69], s[10:11], v[52:53], v[82:83]
	v_add_f64 v[58:59], v[64:65], -v[72:73]
	v_add_f64 v[48:49], v[56:57], -v[48:49]
	v_fmac_f64_e32 v[68:69], s[2:3], v[50:51]
	v_add_f64 v[48:49], v[58:59], v[48:49]
	v_fmac_f64_e32 v[68:69], s[8:9], v[48:49]
	v_fmac_f64_e32 v[82:83], s[4:5], v[52:53]
	v_mul_f64 v[78:79], v[68:69], s[10:11]
	v_fmac_f64_e32 v[82:83], s[12:13], v[50:51]
	v_mul_f64 v[72:73], v[54:55], s[12:13]
	;; [unrolled: 2-line block ×3, first 2 shown]
	v_fmac_f64_e32 v[82:83], s[8:9], v[48:49]
	v_fmac_f64_e32 v[72:73], s[18:19], v[22:23]
	v_add_f64 v[48:49], v[132:133], v[78:79]
	v_add_f64 v[58:59], v[128:129], v[18:19]
	v_fmac_f64_e32 v[142:143], s[2:3], v[22:23]
	v_mul_f64 v[22:23], v[68:69], s[8:9]
	v_add_f64 v[68:69], v[132:133], -v[78:79]
	v_add_f64 v[78:79], v[128:129], -v[18:19]
	v_add_f64 v[18:19], v[0:1], v[112:113]
	v_add_f64 v[12:13], v[32:33], v[96:97]
	v_add_f64 v[32:33], v[32:33], -v[96:97]
	v_mul_f64 v[88:89], v[82:83], s[10:11]
	v_mul_f64 v[96:97], v[74:75], s[12:13]
	v_add_f64 v[18:19], v[18:19], v[114:115]
	v_fmac_f64_e32 v[88:89], s[16:17], v[80:81]
	v_fmac_f64_e32 v[96:97], s[14:15], v[62:63]
	v_mul_f64 v[82:83], v[82:83], s[16:17]
	v_add_f64 v[18:19], v[18:19], v[116:117]
	v_add_f64 v[64:65], v[4:5], v[88:89]
	;; [unrolled: 1-line block ×3, first 2 shown]
	v_fmac_f64_e32 v[82:83], s[4:5], v[80:81]
	v_add_f64 v[80:81], v[4:5], -v[88:89]
	v_add_f64 v[4:5], v[122:123], -v[96:97]
	v_add_f64 v[122:123], v[18:19], v[118:119]
	v_add_f64 v[18:19], v[114:115], v[116:117]
	;; [unrolled: 1-line block ×3, first 2 shown]
	v_fmac_f64_e32 v[22:23], s[4:5], v[66:67]
	v_mul_f64 v[158:159], v[74:75], s[14:15]
	v_add_f64 v[74:75], v[120:121], -v[142:143]
	v_fma_f64 v[120:121], -0.5, v[18:19], v[0:1]
	v_add_f64 v[18:19], v[104:105], -v[110:111]
	v_add_f64 v[56:57], v[124:125], v[70:71]
	v_add_f64 v[50:51], v[134:135], v[22:23]
	v_add_f64 v[76:77], v[124:125], -v[70:71]
	v_add_f64 v[70:71], v[134:135], -v[22:23]
	v_fma_f64 v[124:125], s[10:11], v[18:19], v[120:121]
	v_add_f64 v[22:23], v[106:107], -v[108:109]
	v_add_f64 v[88:89], v[112:113], -v[114:115]
	;; [unrolled: 1-line block ×3, first 2 shown]
	v_fmac_f64_e32 v[120:121], s[4:5], v[18:19]
	v_fmac_f64_e32 v[124:125], s[12:13], v[22:23]
	v_add_f64 v[88:89], v[88:89], v[96:97]
	v_fmac_f64_e32 v[120:121], s[2:3], v[22:23]
	v_fmac_f64_e32 v[124:125], s[8:9], v[88:89]
	;; [unrolled: 1-line block ×3, first 2 shown]
	v_add_f64 v[88:89], v[112:113], v[118:119]
	v_fmac_f64_e32 v[158:159], s[2:3], v[62:63]
	v_fmac_f64_e32 v[0:1], -0.5, v[88:89]
	v_add_f64 v[66:67], v[6:7], v[82:83]
	v_add_f64 v[62:63], v[130:131], v[158:159]
	v_add_f64 v[82:83], v[6:7], -v[82:83]
	v_add_f64 v[6:7], v[130:131], -v[158:159]
	v_fma_f64 v[130:131], s[4:5], v[22:23], v[0:1]
	v_fmac_f64_e32 v[0:1], s[10:11], v[22:23]
	v_fmac_f64_e32 v[130:131], s[12:13], v[18:19]
	;; [unrolled: 1-line block ×3, first 2 shown]
	v_add_f64 v[18:19], v[2:3], v[104:105]
	v_add_f64 v[18:19], v[18:19], v[106:107]
	;; [unrolled: 1-line block ×4, first 2 shown]
	v_add_f64 v[72:73], v[126:127], -v[72:73]
	v_add_f64 v[88:89], v[114:115], -v[112:113]
	;; [unrolled: 1-line block ×3, first 2 shown]
	v_add_f64 v[126:127], v[18:19], v[110:111]
	v_add_f64 v[18:19], v[106:107], v[108:109]
	;; [unrolled: 1-line block ×3, first 2 shown]
	v_fma_f64 v[128:129], -0.5, v[18:19], v[2:3]
	v_add_f64 v[18:19], v[112:113], -v[118:119]
	v_fmac_f64_e32 v[130:131], s[8:9], v[88:89]
	v_fmac_f64_e32 v[0:1], s[8:9], v[88:89]
	v_fma_f64 v[118:119], s[4:5], v[18:19], v[128:129]
	v_add_f64 v[22:23], v[114:115], -v[116:117]
	v_add_f64 v[88:89], v[104:105], -v[106:107]
	v_add_f64 v[96:97], v[110:111], -v[108:109]
	v_fmac_f64_e32 v[128:129], s[10:11], v[18:19]
	v_fmac_f64_e32 v[118:119], s[2:3], v[22:23]
	v_add_f64 v[88:89], v[88:89], v[96:97]
	v_fmac_f64_e32 v[128:129], s[12:13], v[22:23]
	v_fmac_f64_e32 v[118:119], s[8:9], v[88:89]
	;; [unrolled: 1-line block ×3, first 2 shown]
	v_add_f64 v[88:89], v[104:105], v[110:111]
	v_fmac_f64_e32 v[2:3], -0.5, v[88:89]
	v_fma_f64 v[132:133], s[10:11], v[22:23], v[2:3]
	v_fmac_f64_e32 v[2:3], s[4:5], v[22:23]
	v_fmac_f64_e32 v[132:133], s[2:3], v[18:19]
	;; [unrolled: 1-line block ×3, first 2 shown]
	v_add_f64 v[18:19], v[98:99], v[92:93]
	v_add_f64 v[18:19], v[18:19], v[94:95]
	;; [unrolled: 1-line block ×3, first 2 shown]
	v_add_f64 v[88:89], v[106:107], -v[104:105]
	v_add_f64 v[96:97], v[108:109], -v[110:111]
	v_add_f64 v[104:105], v[18:19], v[100:101]
	v_add_f64 v[18:19], v[94:95], v[20:21]
	;; [unrolled: 1-line block ×3, first 2 shown]
	v_fma_f64 v[106:107], -0.5, v[18:19], v[98:99]
	v_add_f64 v[18:19], v[84:85], -v[90:91]
	v_fmac_f64_e32 v[132:133], s[8:9], v[88:89]
	v_fmac_f64_e32 v[2:3], s[8:9], v[88:89]
	v_fma_f64 v[22:23], s[10:11], v[18:19], v[106:107]
	v_add_f64 v[88:89], v[86:87], -v[16:17]
	v_add_f64 v[96:97], v[92:93], -v[94:95]
	;; [unrolled: 1-line block ×3, first 2 shown]
	v_fmac_f64_e32 v[106:107], s[4:5], v[18:19]
	v_fmac_f64_e32 v[22:23], s[12:13], v[88:89]
	v_add_f64 v[96:97], v[96:97], v[108:109]
	v_fmac_f64_e32 v[106:107], s[2:3], v[88:89]
	v_fmac_f64_e32 v[22:23], s[8:9], v[96:97]
	;; [unrolled: 1-line block ×3, first 2 shown]
	v_add_f64 v[96:97], v[92:93], v[100:101]
	v_fmac_f64_e32 v[98:99], -0.5, v[96:97]
	v_fma_f64 v[108:109], s[4:5], v[88:89], v[98:99]
	v_add_f64 v[96:97], v[94:95], -v[92:93]
	v_add_f64 v[110:111], v[20:21], -v[100:101]
	v_fmac_f64_e32 v[98:99], s[10:11], v[88:89]
	v_add_f64 v[88:89], v[86:87], v[16:17]
	v_add_f64 v[96:97], v[96:97], v[110:111]
	v_fma_f64 v[110:111], -0.5, v[88:89], v[102:103]
	v_add_f64 v[88:89], v[92:93], -v[100:101]
	v_fma_f64 v[112:113], s[4:5], v[88:89], v[110:111]
	v_add_f64 v[20:21], v[94:95], -v[20:21]
	v_add_f64 v[92:93], v[84:85], -v[86:87]
	v_add_f64 v[94:95], v[90:91], -v[16:17]
	v_fmac_f64_e32 v[110:111], s[10:11], v[88:89]
	v_fmac_f64_e32 v[112:113], s[2:3], v[20:21]
	v_add_f64 v[92:93], v[92:93], v[94:95]
	v_fmac_f64_e32 v[110:111], s[12:13], v[20:21]
	v_fmac_f64_e32 v[108:109], s[12:13], v[18:19]
	;; [unrolled: 1-line block ×3, first 2 shown]
	v_add_f64 v[18:19], v[102:103], v[84:85]
	v_fmac_f64_e32 v[112:113], s[8:9], v[92:93]
	v_fmac_f64_e32 v[110:111], s[8:9], v[92:93]
	v_add_f64 v[92:93], v[84:85], v[90:91]
	v_add_f64 v[18:19], v[18:19], v[86:87]
	v_fmac_f64_e32 v[102:103], -0.5, v[92:93]
	v_add_f64 v[18:19], v[18:19], v[16:17]
	v_fma_f64 v[114:115], s[10:11], v[20:21], v[102:103]
	v_add_f64 v[84:85], v[86:87], -v[84:85]
	v_add_f64 v[16:17], v[16:17], -v[90:91]
	v_fmac_f64_e32 v[102:103], s[4:5], v[20:21]
	v_fmac_f64_e32 v[114:115], s[2:3], v[88:89]
	v_add_f64 v[16:17], v[84:85], v[16:17]
	v_fmac_f64_e32 v[102:103], s[12:13], v[88:89]
	v_fmac_f64_e32 v[114:115], s[8:9], v[16:17]
	;; [unrolled: 1-line block ×3, first 2 shown]
	v_mul_f64 v[16:17], v[112:113], s[12:13]
	v_mul_f64 v[142:143], v[112:113], s[18:19]
	v_fmac_f64_e32 v[108:109], s[8:9], v[96:97]
	v_fmac_f64_e32 v[98:99], s[8:9], v[96:97]
	;; [unrolled: 1-line block ×3, first 2 shown]
	v_mul_f64 v[20:21], v[114:115], s[10:11]
	v_mul_f64 v[116:117], v[102:103], s[10:11]
	;; [unrolled: 1-line block ×3, first 2 shown]
	v_fmac_f64_e32 v[142:143], s[2:3], v[22:23]
	v_mul_f64 v[22:23], v[114:115], s[8:9]
	v_mul_f64 v[158:159], v[102:103], s[16:17]
	;; [unrolled: 1-line block ×3, first 2 shown]
	v_add_f64 v[18:19], v[18:19], v[90:91]
	v_fmac_f64_e32 v[20:21], s[8:9], v[108:109]
	v_fmac_f64_e32 v[116:117], s[16:17], v[98:99]
	;; [unrolled: 1-line block ×6, first 2 shown]
	v_add_f64 v[92:93], v[122:123], v[104:105]
	v_add_f64 v[88:89], v[124:125], v[16:17]
	;; [unrolled: 1-line block ×10, first 2 shown]
	v_add_f64 v[112:113], v[122:123], -v[104:105]
	v_add_f64 v[108:109], v[124:125], -v[16:17]
	;; [unrolled: 1-line block ×10, first 2 shown]
	s_barrier
	ds_write_b128 v141, v[252:255]
	ds_write_b128 v141, v[12:15] offset:480
	ds_write_b128 v141, v[8:11] offset:960
	ds_write_b128 v141, v[24:27] offset:1440
	ds_write_b128 v141, v[136:139] offset:1920
	ds_write_b128 v141, v[36:39] offset:2400
	ds_write_b128 v141, v[32:35] offset:2880
	ds_write_b128 v141, v[28:31] offset:3360
	ds_write_b128 v141, v[44:47] offset:3840
	ds_write_b128 v141, v[40:43] offset:4320
	ds_write_b128 v140, v[56:59]
	ds_write_b128 v140, v[52:55] offset:480
	ds_write_b128 v140, v[48:51] offset:960
	ds_write_b128 v140, v[64:67] offset:1440
	ds_write_b128 v140, v[60:63] offset:1920
	ds_write_b128 v140, v[76:79] offset:2400
	ds_write_b128 v140, v[72:75] offset:2880
	ds_write_b128 v140, v[68:71] offset:3360
	ds_write_b128 v140, v[80:83] offset:3840
	ds_write_b128 v140, v[4:7] offset:4320
	;; [unrolled: 10-line block ×3, first 2 shown]
	s_waitcnt lgkmcnt(0)
	s_barrier
	ds_read_b128 v[36:39], v240
	ds_read_b128 v[116:119], v240 offset:4800
	ds_read_b128 v[112:115], v240 offset:9600
	;; [unrolled: 1-line block ×29, first 2 shown]
	s_waitcnt lgkmcnt(14)
	v_mul_f64 v[122:123], v[234:235], v[118:119]
	v_mul_f64 v[250:251], v[238:239], v[114:115]
	v_fmac_f64_e32 v[122:123], v[232:233], v[116:117]
	v_mul_f64 v[116:117], v[234:235], v[116:117]
	v_fmac_f64_e32 v[250:251], v[236:237], v[112:113]
	v_mul_f64 v[112:113], v[238:239], v[112:113]
	v_fma_f64 v[124:125], v[232:233], v[118:119], -v[116:117]
	v_fma_f64 v[232:233], v[236:237], v[114:115], -v[112:113]
	v_accvgpr_read_b32 v115, a19
	v_accvgpr_read_b32 v114, a18
	;; [unrolled: 1-line block ×4, first 2 shown]
	v_mul_f64 v[134:135], v[114:115], v[110:111]
	v_fmac_f64_e32 v[134:135], v[112:113], v[108:109]
	v_mul_f64 v[108:109], v[114:115], v[108:109]
	v_mul_f64 v[136:137], v[218:219], v[102:103]
	v_fma_f64 v[126:127], v[112:113], v[110:111], -v[108:109]
	v_accvgpr_read_b32 v111, a11
	v_fmac_f64_e32 v[136:137], v[216:217], v[100:101]
	v_mul_f64 v[100:101], v[218:219], v[100:101]
	v_mul_f64 v[120:121], v[146:147], v[78:79]
	v_accvgpr_read_b32 v110, a10
	v_fma_f64 v[128:129], v[216:217], v[102:103], -v[100:101]
	v_accvgpr_read_b32 v103, a15
	v_mul_f64 v[138:139], v[228:229], v[94:95]
	v_fmac_f64_e32 v[120:121], v[144:145], v[76:77]
	v_mul_f64 v[76:77], v[146:147], v[76:77]
	s_waitcnt lgkmcnt(1)
	v_mul_f64 v[118:119], v[224:225], v[10:11]
	v_accvgpr_read_b32 v109, a9
	v_accvgpr_read_b32 v108, a8
	v_mul_f64 v[236:237], v[110:111], v[106:107]
	v_accvgpr_read_b32 v102, a14
	v_fmac_f64_e32 v[138:139], v[226:227], v[92:93]
	v_mul_f64 v[92:93], v[228:229], v[92:93]
	v_fma_f64 v[78:79], v[144:145], v[78:79], -v[76:77]
	v_mul_f64 v[76:77], v[172:173], v[74:75]
	v_fmac_f64_e32 v[118:119], v[222:223], v[8:9]
	v_mul_f64 v[8:9], v[224:225], v[8:9]
	v_fmac_f64_e32 v[236:237], v[108:109], v[104:105]
	v_mul_f64 v[104:105], v[110:111], v[104:105]
	v_accvgpr_read_b32 v101, a13
	v_accvgpr_read_b32 v100, a12
	v_mul_f64 v[238:239], v[102:103], v[98:99]
	v_fma_f64 v[130:131], v[226:227], v[94:95], -v[92:93]
	v_accvgpr_read_b32 v95, a23
	v_fmac_f64_e32 v[76:77], v[170:171], v[72:73]
	v_mul_f64 v[72:73], v[172:173], v[72:73]
	v_fma_f64 v[110:111], v[222:223], v[10:11], -v[8:9]
	v_accvgpr_read_b32 v11, a7
	v_fmac_f64_e32 v[238:239], v[100:101], v[96:97]
	v_mul_f64 v[96:97], v[102:103], v[96:97]
	v_accvgpr_read_b32 v94, a22
	v_fma_f64 v[72:73], v[170:171], v[74:75], -v[72:73]
	v_mul_f64 v[74:75], v[202:203], v[70:71]
	v_accvgpr_read_b32 v10, a6
	v_fma_f64 v[216:217], v[100:101], v[98:99], -v[96:97]
	v_accvgpr_read_b32 v93, a21
	v_accvgpr_read_b32 v92, a20
	v_mul_f64 v[220:221], v[94:95], v[90:91]
	v_mul_f64 v[158:159], v[214:215], v[82:83]
	v_fmac_f64_e32 v[74:75], v[200:201], v[68:69]
	v_mul_f64 v[68:69], v[202:203], v[68:69]
	v_accvgpr_read_b32 v9, a5
	v_accvgpr_read_b32 v8, a4
	s_waitcnt lgkmcnt(0)
	v_mul_f64 v[100:101], v[10:11], v[6:7]
	v_fmac_f64_e32 v[220:221], v[92:93], v[88:89]
	v_mul_f64 v[88:89], v[94:95], v[88:89]
	v_fmac_f64_e32 v[158:159], v[212:213], v[80:81]
	v_mul_f64 v[80:81], v[214:215], v[80:81]
	v_fma_f64 v[70:71], v[200:201], v[70:71], -v[68:69]
	v_mul_f64 v[68:69], v[154:155], v[66:67]
	v_fmac_f64_e32 v[100:101], v[8:9], v[4:5]
	v_mul_f64 v[4:5], v[10:11], v[4:5]
	v_fma_f64 v[218:219], v[92:93], v[90:91], -v[88:89]
	v_fma_f64 v[132:133], v[212:213], v[82:83], -v[80:81]
	v_mul_f64 v[80:81], v[150:151], v[86:87]
	v_mul_f64 v[82:83], v[150:151], v[84:85]
	v_fmac_f64_e32 v[68:69], v[152:153], v[64:65]
	v_mul_f64 v[64:65], v[154:155], v[64:65]
	v_fma_f64 v[90:91], v[8:9], v[6:7], -v[4:5]
	v_add_f64 v[4:5], v[36:37], v[250:251]
	v_fmac_f64_e32 v[80:81], v[148:149], v[84:85]
	v_fma_f64 v[82:83], v[148:149], v[86:87], -v[82:83]
	v_fma_f64 v[64:65], v[152:153], v[66:67], -v[64:65]
	v_mul_f64 v[66:67], v[162:163], v[62:63]
	v_accvgpr_read_b32 v87, a3
	v_mul_f64 v[114:115], v[210:211], v[26:27]
	v_add_f64 v[4:5], v[4:5], v[236:237]
	v_fmac_f64_e32 v[66:67], v[160:161], v[60:61]
	v_mul_f64 v[60:61], v[162:163], v[60:61]
	v_accvgpr_read_b32 v86, a2
	v_fmac_f64_e32 v[114:115], v[208:209], v[24:25]
	v_mul_f64 v[24:25], v[210:211], v[24:25]
	v_add_f64 v[4:5], v[4:5], v[238:239]
	v_fma_f64 v[234:235], v[108:109], v[106:107], -v[104:105]
	v_fma_f64 v[62:63], v[160:161], v[62:63], -v[60:61]
	v_accvgpr_read_b32 v85, a1
	v_accvgpr_read_b32 v84, a0
	v_mul_f64 v[60:61], v[86:87], v[58:59]
	v_mul_f64 v[92:93], v[194:195], v[30:31]
	v_fma_f64 v[106:107], v[208:209], v[26:27], -v[24:25]
	v_add_f64 v[24:25], v[4:5], v[220:221]
	v_add_f64 v[4:5], v[236:237], v[238:239]
	v_fmac_f64_e32 v[60:61], v[84:85], v[56:57]
	v_mul_f64 v[56:57], v[86:87], v[56:57]
	v_fmac_f64_e32 v[92:93], v[192:193], v[28:29]
	v_mul_f64 v[28:29], v[194:195], v[28:29]
	v_fma_f64 v[26:27], -0.5, v[4:5], v[36:37]
	v_add_f64 v[4:5], v[232:233], -v[218:219]
	v_fma_f64 v[56:57], v[84:85], v[58:59], -v[56:57]
	v_fma_f64 v[84:85], v[192:193], v[30:31], -v[28:29]
	v_fma_f64 v[28:29], s[10:11], v[4:5], v[26:27]
	v_add_f64 v[6:7], v[234:235], -v[216:217]
	v_add_f64 v[8:9], v[250:251], -v[236:237]
	;; [unrolled: 1-line block ×3, first 2 shown]
	v_fmac_f64_e32 v[26:27], s[4:5], v[4:5]
	v_fmac_f64_e32 v[28:29], s[12:13], v[6:7]
	v_add_f64 v[8:9], v[8:9], v[10:11]
	v_fmac_f64_e32 v[26:27], s[2:3], v[6:7]
	v_mul_f64 v[112:113], v[182:183], v[34:35]
	v_fmac_f64_e32 v[28:29], s[8:9], v[8:9]
	v_fmac_f64_e32 v[26:27], s[8:9], v[8:9]
	v_add_f64 v[8:9], v[250:251], v[220:221]
	v_fmac_f64_e32 v[112:113], v[180:181], v[32:33]
	v_mul_f64 v[32:33], v[182:183], v[32:33]
	v_fmac_f64_e32 v[36:37], -0.5, v[8:9]
	v_fma_f64 v[104:105], v[180:181], v[34:35], -v[32:33]
	v_fma_f64 v[34:35], s[4:5], v[6:7], v[36:37]
	v_fmac_f64_e32 v[36:37], s[10:11], v[6:7]
	v_mul_f64 v[58:59], v[206:207], v[54:55]
	v_fmac_f64_e32 v[34:35], s[12:13], v[4:5]
	v_fmac_f64_e32 v[36:37], s[2:3], v[4:5]
	v_add_f64 v[4:5], v[38:39], v[232:233]
	v_fmac_f64_e32 v[58:59], v[204:205], v[52:53]
	v_mul_f64 v[52:53], v[206:207], v[52:53]
	v_add_f64 v[4:5], v[4:5], v[234:235]
	v_fma_f64 v[54:55], v[204:205], v[54:55], -v[52:53]
	v_mul_f64 v[52:53], v[186:187], v[50:51]
	v_add_f64 v[4:5], v[4:5], v[216:217]
	v_fmac_f64_e32 v[52:53], v[184:185], v[48:49]
	v_mul_f64 v[48:49], v[186:187], v[48:49]
	v_mul_f64 v[98:99], v[168:169], v[42:43]
	v_add_f64 v[8:9], v[236:237], -v[250:251]
	v_add_f64 v[10:11], v[238:239], -v[220:221]
	v_add_f64 v[30:31], v[4:5], v[218:219]
	v_add_f64 v[4:5], v[234:235], v[216:217]
	v_fma_f64 v[48:49], v[184:185], v[50:51], -v[48:49]
	v_fmac_f64_e32 v[98:99], v[166:167], v[40:41]
	v_mul_f64 v[40:41], v[168:169], v[40:41]
	v_add_f64 v[8:9], v[8:9], v[10:11]
	v_fma_f64 v[50:51], -0.5, v[4:5], v[38:39]
	v_add_f64 v[4:5], v[250:251], -v[220:221]
	v_fma_f64 v[102:103], v[166:167], v[42:43], -v[40:41]
	v_fmac_f64_e32 v[34:35], s[8:9], v[8:9]
	v_fmac_f64_e32 v[36:37], s[8:9], v[8:9]
	v_fma_f64 v[42:43], s[4:5], v[4:5], v[50:51]
	v_add_f64 v[6:7], v[236:237], -v[238:239]
	v_add_f64 v[8:9], v[232:233], -v[234:235]
	;; [unrolled: 1-line block ×3, first 2 shown]
	v_fmac_f64_e32 v[50:51], s[10:11], v[4:5]
	v_fmac_f64_e32 v[42:43], s[2:3], v[6:7]
	v_add_f64 v[8:9], v[8:9], v[10:11]
	v_fmac_f64_e32 v[50:51], s[12:13], v[6:7]
	v_fmac_f64_e32 v[42:43], s[8:9], v[8:9]
	;; [unrolled: 1-line block ×3, first 2 shown]
	v_add_f64 v[8:9], v[232:233], v[218:219]
	v_fmac_f64_e32 v[38:39], -0.5, v[8:9]
	v_fma_f64 v[140:141], s[10:11], v[6:7], v[38:39]
	v_fmac_f64_e32 v[38:39], s[4:5], v[6:7]
	v_fmac_f64_e32 v[140:141], s[2:3], v[4:5]
	;; [unrolled: 1-line block ×3, first 2 shown]
	v_add_f64 v[4:5], v[122:123], v[134:135]
	v_add_f64 v[4:5], v[4:5], v[136:137]
	v_mul_f64 v[116:117], v[190:191], v[18:19]
	v_add_f64 v[4:5], v[4:5], v[138:139]
	v_fmac_f64_e32 v[116:117], v[188:189], v[16:17]
	v_mul_f64 v[16:17], v[190:191], v[16:17]
	v_mul_f64 v[96:97], v[198:199], v[14:15]
	v_add_f64 v[8:9], v[234:235], -v[232:233]
	v_add_f64 v[10:11], v[216:217], -v[218:219]
	v_add_f64 v[32:33], v[4:5], v[158:159]
	v_add_f64 v[4:5], v[136:137], v[138:139]
	v_fma_f64 v[108:109], v[188:189], v[18:19], -v[16:17]
	v_fmac_f64_e32 v[96:97], v[196:197], v[12:13]
	v_mul_f64 v[12:13], v[198:199], v[12:13]
	v_add_f64 v[8:9], v[8:9], v[10:11]
	v_fma_f64 v[18:19], -0.5, v[4:5], v[122:123]
	v_add_f64 v[4:5], v[126:127], -v[132:133]
	v_fma_f64 v[88:89], v[196:197], v[14:15], -v[12:13]
	v_fmac_f64_e32 v[140:141], s[8:9], v[8:9]
	v_fmac_f64_e32 v[38:39], s[8:9], v[8:9]
	v_fma_f64 v[6:7], s[10:11], v[4:5], v[18:19]
	v_add_f64 v[8:9], v[128:129], -v[130:131]
	v_add_f64 v[10:11], v[134:135], -v[136:137]
	;; [unrolled: 1-line block ×3, first 2 shown]
	v_fmac_f64_e32 v[18:19], s[4:5], v[4:5]
	v_fmac_f64_e32 v[6:7], s[12:13], v[8:9]
	v_add_f64 v[10:11], v[10:11], v[12:13]
	v_fmac_f64_e32 v[18:19], s[2:3], v[8:9]
	v_mul_f64 v[94:95], v[176:177], v[22:23]
	v_fmac_f64_e32 v[6:7], s[8:9], v[10:11]
	v_fmac_f64_e32 v[18:19], s[8:9], v[10:11]
	v_add_f64 v[10:11], v[134:135], v[158:159]
	v_fmac_f64_e32 v[94:95], v[174:175], v[20:21]
	v_mul_f64 v[20:21], v[176:177], v[20:21]
	v_fmac_f64_e32 v[122:123], -0.5, v[10:11]
	v_fma_f64 v[86:87], v[174:175], v[22:23], -v[20:21]
	v_fma_f64 v[22:23], s[4:5], v[8:9], v[122:123]
	v_fmac_f64_e32 v[122:123], s[10:11], v[8:9]
	v_fmac_f64_e32 v[22:23], s[12:13], v[4:5]
	;; [unrolled: 1-line block ×3, first 2 shown]
	v_add_f64 v[4:5], v[124:125], v[126:127]
	v_add_f64 v[4:5], v[4:5], v[128:129]
	;; [unrolled: 1-line block ×3, first 2 shown]
	v_add_f64 v[10:11], v[136:137], -v[134:135]
	v_add_f64 v[12:13], v[138:139], -v[158:159]
	v_add_f64 v[142:143], v[4:5], v[132:133]
	v_add_f64 v[4:5], v[128:129], v[130:131]
	;; [unrolled: 1-line block ×3, first 2 shown]
	v_fma_f64 v[40:41], -0.5, v[4:5], v[124:125]
	v_add_f64 v[4:5], v[134:135], -v[158:159]
	v_fmac_f64_e32 v[22:23], s[8:9], v[10:11]
	v_fmac_f64_e32 v[122:123], s[8:9], v[10:11]
	v_fma_f64 v[10:11], s[4:5], v[4:5], v[40:41]
	v_add_f64 v[8:9], v[136:137], -v[138:139]
	v_add_f64 v[12:13], v[126:127], -v[128:129]
	;; [unrolled: 1-line block ×3, first 2 shown]
	v_fmac_f64_e32 v[40:41], s[10:11], v[4:5]
	v_fmac_f64_e32 v[10:11], s[2:3], v[8:9]
	v_add_f64 v[12:13], v[12:13], v[14:15]
	v_fmac_f64_e32 v[40:41], s[12:13], v[8:9]
	v_fmac_f64_e32 v[10:11], s[8:9], v[12:13]
	;; [unrolled: 1-line block ×3, first 2 shown]
	v_add_f64 v[12:13], v[126:127], v[132:133]
	v_fmac_f64_e32 v[124:125], -0.5, v[12:13]
	v_fma_f64 v[134:135], s[10:11], v[8:9], v[124:125]
	v_add_f64 v[12:13], v[128:129], -v[126:127]
	v_add_f64 v[14:15], v[130:131], -v[132:133]
	v_fmac_f64_e32 v[124:125], s[4:5], v[8:9]
	v_add_f64 v[12:13], v[12:13], v[14:15]
	v_fmac_f64_e32 v[124:125], s[12:13], v[4:5]
	v_fmac_f64_e32 v[134:135], s[2:3], v[4:5]
	;; [unrolled: 1-line block ×4, first 2 shown]
	v_mul_f64 v[130:131], v[124:125], s[10:11]
	v_mul_f64 v[124:125], v[124:125], s[16:17]
	;; [unrolled: 1-line block ×3, first 2 shown]
	v_fmac_f64_e32 v[130:131], s[16:17], v[122:123]
	v_mul_f64 v[136:137], v[10:11], s[18:19]
	v_fmac_f64_e32 v[124:125], s[4:5], v[122:123]
	v_mul_f64 v[122:123], v[40:41], s[14:15]
	;; [unrolled: 2-line block ×4, first 2 shown]
	v_fmac_f64_e32 v[122:123], s[2:3], v[18:19]
	v_add_f64 v[12:13], v[24:25], v[32:33]
	v_mul_f64 v[126:127], v[10:11], s[12:13]
	v_add_f64 v[4:5], v[34:35], v[128:129]
	v_fmac_f64_e32 v[132:133], s[14:15], v[18:19]
	v_add_f64 v[14:15], v[30:31], v[142:143]
	v_add_f64 v[10:11], v[42:43], v[136:137]
	v_fmac_f64_e32 v[134:135], s[4:5], v[22:23]
	v_add_f64 v[22:23], v[38:39], v[124:125]
	v_add_f64 v[18:19], v[50:51], v[122:123]
	v_add_f64 v[32:33], v[24:25], -v[32:33]
	v_add_f64 v[24:25], v[34:35], -v[128:129]
	v_add_f64 v[34:35], v[30:31], -v[142:143]
	v_add_f64 v[30:31], v[42:43], -v[136:137]
	v_add_f64 v[42:43], v[38:39], -v[124:125]
	v_add_f64 v[38:39], v[50:51], -v[122:123]
	v_add_f64 v[50:51], v[44:45], v[120:121]
	v_add_f64 v[50:51], v[50:51], v[74:75]
	;; [unrolled: 1-line block ×5, first 2 shown]
	v_fmac_f64_e32 v[126:127], s[18:19], v[6:7]
	v_fma_f64 v[122:123], -0.5, v[50:51], v[44:45]
	v_add_f64 v[50:51], v[78:79], -v[54:55]
	v_add_f64 v[8:9], v[28:29], v[126:127]
	v_add_f64 v[20:21], v[36:37], v[130:131]
	;; [unrolled: 1-line block ×3, first 2 shown]
	v_add_f64 v[28:29], v[28:29], -v[126:127]
	v_add_f64 v[40:41], v[36:37], -v[130:131]
	;; [unrolled: 1-line block ×3, first 2 shown]
	v_fma_f64 v[126:127], s[10:11], v[50:51], v[122:123]
	v_add_f64 v[128:129], v[70:71], -v[62:63]
	v_add_f64 v[130:131], v[120:121], -v[74:75]
	;; [unrolled: 1-line block ×3, first 2 shown]
	v_fmac_f64_e32 v[122:123], s[4:5], v[50:51]
	v_fmac_f64_e32 v[126:127], s[12:13], v[128:129]
	v_add_f64 v[130:131], v[130:131], v[132:133]
	v_fmac_f64_e32 v[122:123], s[2:3], v[128:129]
	v_fmac_f64_e32 v[126:127], s[8:9], v[130:131]
	;; [unrolled: 1-line block ×3, first 2 shown]
	v_add_f64 v[130:131], v[120:121], v[58:59]
	v_fmac_f64_e32 v[44:45], -0.5, v[130:131]
	v_fma_f64 v[132:133], s[4:5], v[128:129], v[44:45]
	v_fmac_f64_e32 v[44:45], s[10:11], v[128:129]
	v_fmac_f64_e32 v[132:133], s[12:13], v[50:51]
	;; [unrolled: 1-line block ×3, first 2 shown]
	v_add_f64 v[50:51], v[46:47], v[78:79]
	v_add_f64 v[50:51], v[50:51], v[70:71]
	;; [unrolled: 1-line block ×3, first 2 shown]
	v_add_f64 v[26:27], v[140:141], -v[134:135]
	v_add_f64 v[130:131], v[74:75], -v[120:121]
	;; [unrolled: 1-line block ×3, first 2 shown]
	v_add_f64 v[50:51], v[50:51], v[62:63]
	v_add_f64 v[130:131], v[130:131], v[134:135]
	;; [unrolled: 1-line block ×4, first 2 shown]
	v_fmac_f64_e32 v[132:133], s[8:9], v[130:131]
	v_fmac_f64_e32 v[44:45], s[8:9], v[130:131]
	v_fma_f64 v[130:131], -0.5, v[50:51], v[46:47]
	v_add_f64 v[50:51], v[120:121], -v[58:59]
	v_fma_f64 v[120:121], s[4:5], v[50:51], v[130:131]
	v_add_f64 v[58:59], v[74:75], -v[66:67]
	v_add_f64 v[66:67], v[78:79], -v[70:71]
	;; [unrolled: 1-line block ×3, first 2 shown]
	v_fmac_f64_e32 v[130:131], s[10:11], v[50:51]
	v_fmac_f64_e32 v[120:121], s[2:3], v[58:59]
	v_add_f64 v[66:67], v[66:67], v[74:75]
	v_fmac_f64_e32 v[130:131], s[12:13], v[58:59]
	v_fmac_f64_e32 v[120:121], s[8:9], v[66:67]
	;; [unrolled: 1-line block ×3, first 2 shown]
	v_add_f64 v[66:67], v[78:79], v[54:55]
	v_fmac_f64_e32 v[46:47], -0.5, v[66:67]
	v_fma_f64 v[134:135], s[10:11], v[58:59], v[46:47]
	v_fmac_f64_e32 v[46:47], s[4:5], v[58:59]
	v_fmac_f64_e32 v[134:135], s[2:3], v[50:51]
	;; [unrolled: 1-line block ×3, first 2 shown]
	v_add_f64 v[50:51], v[80:81], v[76:77]
	v_add_f64 v[50:51], v[50:51], v[68:69]
	;; [unrolled: 1-line block ×3, first 2 shown]
	v_add_f64 v[66:67], v[70:71], -v[78:79]
	v_add_f64 v[54:55], v[62:63], -v[54:55]
	v_add_f64 v[70:71], v[50:51], v[52:53]
	v_add_f64 v[50:51], v[68:69], v[60:61]
	;; [unrolled: 1-line block ×3, first 2 shown]
	v_fma_f64 v[62:63], -0.5, v[50:51], v[80:81]
	v_add_f64 v[50:51], v[72:73], -v[48:49]
	v_fmac_f64_e32 v[134:135], s[8:9], v[54:55]
	v_fmac_f64_e32 v[46:47], s[8:9], v[54:55]
	v_fma_f64 v[54:55], s[10:11], v[50:51], v[62:63]
	v_add_f64 v[58:59], v[64:65], -v[56:57]
	v_add_f64 v[66:67], v[76:77], -v[68:69]
	;; [unrolled: 1-line block ×3, first 2 shown]
	v_fmac_f64_e32 v[62:63], s[4:5], v[50:51]
	v_fmac_f64_e32 v[54:55], s[12:13], v[58:59]
	v_add_f64 v[66:67], v[66:67], v[74:75]
	v_fmac_f64_e32 v[62:63], s[2:3], v[58:59]
	v_fmac_f64_e32 v[54:55], s[8:9], v[66:67]
	;; [unrolled: 1-line block ×3, first 2 shown]
	v_add_f64 v[66:67], v[76:77], v[52:53]
	v_fmac_f64_e32 v[80:81], -0.5, v[66:67]
	v_fma_f64 v[66:67], s[4:5], v[58:59], v[80:81]
	v_fmac_f64_e32 v[80:81], s[10:11], v[58:59]
	v_fmac_f64_e32 v[66:67], s[12:13], v[50:51]
	;; [unrolled: 1-line block ×3, first 2 shown]
	v_add_f64 v[50:51], v[82:83], v[72:73]
	v_add_f64 v[74:75], v[68:69], -v[76:77]
	v_add_f64 v[78:79], v[60:61], -v[52:53]
	v_add_f64 v[50:51], v[50:51], v[64:65]
	v_add_f64 v[74:75], v[74:75], v[78:79]
	;; [unrolled: 1-line block ×3, first 2 shown]
	v_fmac_f64_e32 v[66:67], s[8:9], v[74:75]
	v_fmac_f64_e32 v[80:81], s[8:9], v[74:75]
	v_add_f64 v[74:75], v[50:51], v[48:49]
	v_add_f64 v[50:51], v[64:65], v[56:57]
	v_fma_f64 v[78:79], -0.5, v[50:51], v[82:83]
	v_add_f64 v[50:51], v[76:77], -v[52:53]
	v_fma_f64 v[76:77], s[4:5], v[50:51], v[78:79]
	v_add_f64 v[52:53], v[68:69], -v[60:61]
	v_add_f64 v[58:59], v[72:73], -v[64:65]
	;; [unrolled: 1-line block ×3, first 2 shown]
	v_fmac_f64_e32 v[76:77], s[2:3], v[52:53]
	v_add_f64 v[58:59], v[58:59], v[60:61]
	v_fmac_f64_e32 v[78:79], s[10:11], v[50:51]
	v_fmac_f64_e32 v[76:77], s[8:9], v[58:59]
	;; [unrolled: 1-line block ×4, first 2 shown]
	v_add_f64 v[58:59], v[72:73], v[48:49]
	v_mul_f64 v[142:143], v[76:77], s[18:19]
	v_fmac_f64_e32 v[82:83], -0.5, v[58:59]
	v_add_f64 v[58:59], v[64:65], -v[72:73]
	v_add_f64 v[48:49], v[56:57], -v[48:49]
	v_mul_f64 v[72:73], v[76:77], s[12:13]
	v_fmac_f64_e32 v[142:143], s[2:3], v[54:55]
	v_fma_f64 v[68:69], s[10:11], v[52:53], v[82:83]
	v_add_f64 v[48:49], v[58:59], v[48:49]
	v_fmac_f64_e32 v[82:83], s[4:5], v[52:53]
	v_fmac_f64_e32 v[72:73], s[18:19], v[54:55]
	v_mul_f64 v[140:141], v[78:79], s[12:13]
	v_add_f64 v[58:59], v[128:129], v[74:75]
	v_add_f64 v[54:55], v[120:121], v[142:143]
	v_mul_f64 v[146:147], v[78:79], s[14:15]
	v_add_f64 v[78:79], v[128:129], -v[74:75]
	v_add_f64 v[74:75], v[120:121], -v[142:143]
	v_add_f64 v[120:121], v[0:1], v[112:113]
	v_fmac_f64_e32 v[68:69], s[2:3], v[50:51]
	v_fmac_f64_e32 v[82:83], s[12:13], v[50:51]
	v_add_f64 v[120:121], v[120:121], v[114:115]
	v_fmac_f64_e32 v[68:69], s[8:9], v[48:49]
	v_fmac_f64_e32 v[82:83], s[8:9], v[48:49]
	v_add_f64 v[120:121], v[120:121], v[116:117]
	v_add_f64 v[52:53], v[126:127], v[72:73]
	v_mul_f64 v[136:137], v[68:69], s[10:11]
	v_mul_f64 v[138:139], v[82:83], s[10:11]
	;; [unrolled: 1-line block ×3, first 2 shown]
	v_add_f64 v[72:73], v[126:127], -v[72:73]
	v_add_f64 v[126:127], v[120:121], v[118:119]
	v_add_f64 v[120:121], v[114:115], v[116:117]
	;; [unrolled: 1-line block ×3, first 2 shown]
	v_fmac_f64_e32 v[136:137], s[8:9], v[66:67]
	v_fmac_f64_e32 v[138:139], s[16:17], v[80:81]
	;; [unrolled: 1-line block ×3, first 2 shown]
	v_mul_f64 v[144:145], v[68:69], s[8:9]
	v_fmac_f64_e32 v[82:83], s[4:5], v[80:81]
	v_fmac_f64_e32 v[146:147], s[2:3], v[62:63]
	v_add_f64 v[76:77], v[124:125], -v[70:71]
	v_fma_f64 v[124:125], -0.5, v[120:121], v[0:1]
	v_add_f64 v[120:121], v[104:105], -v[110:111]
	v_add_f64 v[48:49], v[132:133], v[136:137]
	v_add_f64 v[64:65], v[44:45], v[138:139]
	;; [unrolled: 1-line block ×3, first 2 shown]
	v_fmac_f64_e32 v[144:145], s[4:5], v[66:67]
	v_add_f64 v[66:67], v[46:47], v[82:83]
	v_add_f64 v[62:63], v[130:131], v[146:147]
	v_add_f64 v[68:69], v[132:133], -v[136:137]
	v_add_f64 v[80:81], v[44:45], -v[138:139]
	;; [unrolled: 1-line block ×5, first 2 shown]
	v_fma_f64 v[128:129], s[10:11], v[120:121], v[124:125]
	v_add_f64 v[122:123], v[106:107], -v[108:109]
	v_add_f64 v[130:131], v[112:113], -v[114:115]
	;; [unrolled: 1-line block ×3, first 2 shown]
	v_fmac_f64_e32 v[124:125], s[4:5], v[120:121]
	v_fmac_f64_e32 v[128:129], s[12:13], v[122:123]
	v_add_f64 v[130:131], v[130:131], v[132:133]
	v_fmac_f64_e32 v[124:125], s[2:3], v[122:123]
	v_fmac_f64_e32 v[128:129], s[8:9], v[130:131]
	;; [unrolled: 1-line block ×3, first 2 shown]
	v_add_f64 v[130:131], v[112:113], v[118:119]
	v_fmac_f64_e32 v[0:1], -0.5, v[130:131]
	v_fma_f64 v[132:133], s[4:5], v[122:123], v[0:1]
	v_fmac_f64_e32 v[0:1], s[10:11], v[122:123]
	v_fmac_f64_e32 v[132:133], s[12:13], v[120:121]
	;; [unrolled: 1-line block ×3, first 2 shown]
	v_add_f64 v[120:121], v[2:3], v[104:105]
	v_add_f64 v[50:51], v[134:135], v[144:145]
	v_add_f64 v[70:71], v[134:135], -v[144:145]
	v_add_f64 v[130:131], v[114:115], -v[112:113]
	;; [unrolled: 1-line block ×3, first 2 shown]
	v_add_f64 v[120:121], v[120:121], v[106:107]
	v_add_f64 v[130:131], v[130:131], v[134:135]
	v_add_f64 v[120:121], v[120:121], v[108:109]
	v_fmac_f64_e32 v[132:133], s[8:9], v[130:131]
	v_fmac_f64_e32 v[0:1], s[8:9], v[130:131]
	v_add_f64 v[130:131], v[120:121], v[110:111]
	v_add_f64 v[120:121], v[106:107], v[108:109]
	v_fma_f64 v[120:121], -0.5, v[120:121], v[2:3]
	v_add_f64 v[112:113], v[112:113], -v[118:119]
	v_fma_f64 v[118:119], s[4:5], v[112:113], v[120:121]
	v_add_f64 v[114:115], v[114:115], -v[116:117]
	v_add_f64 v[116:117], v[104:105], -v[106:107]
	;; [unrolled: 1-line block ×3, first 2 shown]
	v_fmac_f64_e32 v[120:121], s[10:11], v[112:113]
	v_fmac_f64_e32 v[118:119], s[2:3], v[114:115]
	v_add_f64 v[116:117], v[116:117], v[122:123]
	v_fmac_f64_e32 v[120:121], s[12:13], v[114:115]
	v_fmac_f64_e32 v[118:119], s[8:9], v[116:117]
	;; [unrolled: 1-line block ×3, first 2 shown]
	v_add_f64 v[116:117], v[104:105], v[110:111]
	v_add_f64 v[104:105], v[106:107], -v[104:105]
	v_add_f64 v[106:107], v[108:109], -v[110:111]
	v_fmac_f64_e32 v[2:3], -0.5, v[116:117]
	v_add_f64 v[104:105], v[104:105], v[106:107]
	v_add_f64 v[106:107], v[94:95], v[96:97]
	v_fma_f64 v[134:135], s[10:11], v[114:115], v[2:3]
	v_fmac_f64_e32 v[2:3], s[4:5], v[114:115]
	v_fma_f64 v[106:107], -0.5, v[106:107], v[98:99]
	v_add_f64 v[108:109], v[84:85], -v[90:91]
	v_fmac_f64_e32 v[134:135], s[2:3], v[112:113]
	v_fmac_f64_e32 v[2:3], s[12:13], v[112:113]
	v_fma_f64 v[112:113], s[10:11], v[108:109], v[106:107]
	v_add_f64 v[110:111], v[86:87], -v[88:89]
	v_add_f64 v[114:115], v[92:93], -v[94:95]
	;; [unrolled: 1-line block ×3, first 2 shown]
	v_fmac_f64_e32 v[106:107], s[4:5], v[108:109]
	v_fmac_f64_e32 v[112:113], s[12:13], v[110:111]
	v_add_f64 v[114:115], v[114:115], v[116:117]
	v_fmac_f64_e32 v[106:107], s[2:3], v[110:111]
	v_fmac_f64_e32 v[112:113], s[8:9], v[114:115]
	;; [unrolled: 1-line block ×3, first 2 shown]
	v_add_f64 v[114:115], v[92:93], v[100:101]
	v_fmac_f64_e32 v[134:135], s[8:9], v[104:105]
	v_fmac_f64_e32 v[2:3], s[8:9], v[104:105]
	v_add_f64 v[104:105], v[98:99], v[92:93]
	v_fmac_f64_e32 v[98:99], -0.5, v[114:115]
	v_fma_f64 v[114:115], s[4:5], v[110:111], v[98:99]
	v_fmac_f64_e32 v[98:99], s[10:11], v[110:111]
	v_fmac_f64_e32 v[114:115], s[12:13], v[108:109]
	;; [unrolled: 1-line block ×3, first 2 shown]
	v_add_f64 v[108:109], v[102:103], v[84:85]
	v_add_f64 v[108:109], v[108:109], v[86:87]
	;; [unrolled: 1-line block ×4, first 2 shown]
	v_add_f64 v[116:117], v[94:95], -v[92:93]
	v_add_f64 v[122:123], v[96:97], -v[100:101]
	v_add_f64 v[110:111], v[108:109], v[90:91]
	v_add_f64 v[108:109], v[86:87], v[88:89]
	;; [unrolled: 1-line block ×4, first 2 shown]
	v_fma_f64 v[108:109], -0.5, v[108:109], v[102:103]
	v_add_f64 v[92:93], v[92:93], -v[100:101]
	v_add_f64 v[104:105], v[104:105], v[100:101]
	v_fmac_f64_e32 v[114:115], s[8:9], v[116:117]
	v_fmac_f64_e32 v[98:99], s[8:9], v[116:117]
	v_fma_f64 v[116:117], s[4:5], v[92:93], v[108:109]
	v_add_f64 v[94:95], v[94:95], -v[96:97]
	v_add_f64 v[96:97], v[84:85], -v[86:87]
	;; [unrolled: 1-line block ×3, first 2 shown]
	v_fmac_f64_e32 v[108:109], s[10:11], v[92:93]
	v_fmac_f64_e32 v[116:117], s[2:3], v[94:95]
	v_add_f64 v[96:97], v[96:97], v[100:101]
	v_fmac_f64_e32 v[108:109], s[12:13], v[94:95]
	v_fmac_f64_e32 v[116:117], s[8:9], v[96:97]
	;; [unrolled: 1-line block ×3, first 2 shown]
	v_add_f64 v[96:97], v[84:85], v[90:91]
	v_fmac_f64_e32 v[102:103], -0.5, v[96:97]
	v_fma_f64 v[122:123], s[10:11], v[94:95], v[102:103]
	v_add_f64 v[84:85], v[86:87], -v[84:85]
	v_add_f64 v[86:87], v[88:89], -v[90:91]
	v_fmac_f64_e32 v[102:103], s[4:5], v[94:95]
	v_fmac_f64_e32 v[122:123], s[2:3], v[92:93]
	v_add_f64 v[84:85], v[84:85], v[86:87]
	v_fmac_f64_e32 v[102:103], s[12:13], v[92:93]
	v_fmac_f64_e32 v[122:123], s[8:9], v[84:85]
	;; [unrolled: 1-line block ×3, first 2 shown]
	v_mul_f64 v[136:137], v[116:117], s[12:13]
	v_mul_f64 v[138:139], v[122:123], s[10:11]
	;; [unrolled: 1-line block ×8, first 2 shown]
	v_fmac_f64_e32 v[136:137], s[18:19], v[112:113]
	v_fmac_f64_e32 v[138:139], s[8:9], v[114:115]
	;; [unrolled: 1-line block ×8, first 2 shown]
	v_add_f64 v[92:93], v[126:127], v[104:105]
	v_add_f64 v[88:89], v[128:129], v[136:137]
	;; [unrolled: 1-line block ×10, first 2 shown]
	v_add_f64 v[112:113], v[126:127], -v[104:105]
	v_add_f64 v[108:109], v[128:129], -v[136:137]
	;; [unrolled: 1-line block ×10, first 2 shown]
	ds_write_b128 v240, v[12:15]
	ds_write_b128 v240, v[8:11] offset:4800
	ds_write_b128 v240, v[4:7] offset:9600
	;; [unrolled: 1-line block ×29, first 2 shown]
	s_waitcnt lgkmcnt(0)
	s_barrier
	scratch_load_dwordx4 v[6:9], off, off offset:44 ; 16-byte Folded Reload
	ds_read_b128 v[0:3], v240
	s_mov_b32 s2, 0xc3ece2a5
	s_mov_b32 s3, 0x3f35d867
	s_waitcnt vmcnt(0) lgkmcnt(0)
	v_mul_f64 v[4:5], v[8:9], v[2:3]
	v_fmac_f64_e32 v[4:5], v[6:7], v[0:1]
	v_mul_f64 v[0:1], v[8:9], v[0:1]
	v_fma_f64 v[0:1], v[6:7], v[2:3], -v[0:1]
	v_mul_f64 v[6:7], v[0:1], s[2:3]
	v_mad_u64_u32 v[0:1], s[4:5], s0, v156, 0
	v_mov_b32_e32 v2, v1
	v_mad_u64_u32 v[2:3], s[4:5], s1, v156, v[2:3]
	v_mov_b32_e32 v1, v2
	scratch_load_dwordx2 v[2:3], off, off offset:28 ; 8-byte Folded Reload
	scratch_load_dwordx2 v[8:9], off, off offset:36 ; 8-byte Folded Reload
	scratch_load_dwordx4 v[10:13], off, off offset:76 ; 16-byte Folded Reload
	v_mul_f64 v[4:5], v[4:5], s[2:3]
	s_waitcnt vmcnt(1)
	v_lshl_add_u64 v[2:3], v[8:9], 4, v[2:3]
	v_lshl_add_u64 v[8:9], v[0:1], 4, v[2:3]
	ds_read_b128 v[0:3], v240 offset:4800
	global_store_dwordx4 v[8:9], v[4:7], off
	v_mad_u64_u32 v[8:9], s[4:5], s0, v242, v[8:9]
	s_mul_i32 s4, s1, 0x12c0
	s_waitcnt vmcnt(1) lgkmcnt(0)
	v_mul_f64 v[4:5], v[12:13], v[2:3]
	v_fmac_f64_e32 v[4:5], v[10:11], v[0:1]
	v_mul_f64 v[0:1], v[12:13], v[0:1]
	v_fma_f64 v[0:1], v[10:11], v[2:3], -v[0:1]
	scratch_load_dwordx4 v[10:13], off, off offset:92 ; 16-byte Folded Reload
	v_mul_f64 v[6:7], v[0:1], s[2:3]
	ds_read_b128 v[0:3], v240 offset:9600
	v_mul_f64 v[4:5], v[4:5], s[2:3]
	v_add_u32_e32 v9, s4, v9
	global_store_dwordx4 v[8:9], v[4:7], off
	v_mad_u64_u32 v[8:9], s[6:7], s0, v242, v[8:9]
	v_add_u32_e32 v9, s4, v9
	s_mul_i32 s1, s1, 0xffff5d80
	s_sub_i32 s1, s1, s0
	s_waitcnt vmcnt(1) lgkmcnt(0)
	v_mul_f64 v[4:5], v[12:13], v[2:3]
	v_fmac_f64_e32 v[4:5], v[10:11], v[0:1]
	v_mul_f64 v[0:1], v[12:13], v[0:1]
	v_fma_f64 v[0:1], v[10:11], v[2:3], -v[0:1]
	scratch_load_dwordx4 v[10:13], off, off offset:108 ; 16-byte Folded Reload
	v_mul_f64 v[6:7], v[0:1], s[2:3]
	ds_read_b128 v[0:3], v240 offset:14400
	v_mul_f64 v[4:5], v[4:5], s[2:3]
	global_store_dwordx4 v[8:9], v[4:7], off
	v_mad_u64_u32 v[8:9], s[6:7], s0, v242, v[8:9]
	v_add_u32_e32 v9, s4, v9
	s_waitcnt vmcnt(1) lgkmcnt(0)
	v_mul_f64 v[4:5], v[12:13], v[2:3]
	v_fmac_f64_e32 v[4:5], v[10:11], v[0:1]
	v_mul_f64 v[0:1], v[12:13], v[0:1]
	v_fma_f64 v[0:1], v[10:11], v[2:3], -v[0:1]
	scratch_load_dwordx4 v[10:13], off, off offset:124 ; 16-byte Folded Reload
	v_mul_f64 v[6:7], v[0:1], s[2:3]
	ds_read_b128 v[0:3], v240 offset:19200
	v_mul_f64 v[4:5], v[4:5], s[2:3]
	global_store_dwordx4 v[8:9], v[4:7], off
	v_mad_u64_u32 v[8:9], s[6:7], s0, v242, v[8:9]
	v_add_u32_e32 v9, s4, v9
	;; [unrolled: 12-line block ×7, first 2 shown]
	s_waitcnt vmcnt(1) lgkmcnt(0)
	v_mul_f64 v[4:5], v[12:13], v[2:3]
	v_fmac_f64_e32 v[4:5], v[10:11], v[0:1]
	v_mul_f64 v[0:1], v[12:13], v[0:1]
	v_fma_f64 v[0:1], v[10:11], v[2:3], -v[0:1]
	scratch_load_dwordx4 v[10:13], off, off offset:220 ; 16-byte Folded Reload
	v_mul_f64 v[6:7], v[0:1], s[2:3]
	ds_read_b128 v[0:3], v240 offset:1600
	v_mul_f64 v[4:5], v[4:5], s[2:3]
	global_store_dwordx4 v[8:9], v[4:7], off
	s_waitcnt vmcnt(1) lgkmcnt(0)
	s_nop 0
	v_mul_f64 v[4:5], v[12:13], v[2:3]
	v_fmac_f64_e32 v[4:5], v[10:11], v[0:1]
	v_mul_f64 v[0:1], v[12:13], v[0:1]
	scratch_load_dwordx4 v[12:15], off, off offset:236 ; 16-byte Folded Reload
	v_fma_f64 v[0:1], v[10:11], v[2:3], -v[0:1]
	v_mul_f64 v[6:7], v[0:1], s[2:3]
	ds_read_b128 v[0:3], v240 offset:6400
	v_mov_b32_e32 v10, 0xffff5d80
	v_mad_u64_u32 v[8:9], s[6:7], s0, v10, v[8:9]
	v_mul_f64 v[4:5], v[4:5], s[2:3]
	v_add_u32_e32 v9, s1, v9
	global_store_dwordx4 v[8:9], v[4:7], off
	v_mad_u64_u32 v[8:9], s[6:7], s0, v242, v[8:9]
	v_add_u32_e32 v9, s4, v9
	s_waitcnt vmcnt(1) lgkmcnt(0)
	v_mul_f64 v[4:5], v[14:15], v[2:3]
	v_fmac_f64_e32 v[4:5], v[12:13], v[0:1]
	v_mul_f64 v[0:1], v[14:15], v[0:1]
	v_fma_f64 v[0:1], v[12:13], v[2:3], -v[0:1]
	v_mul_f64 v[6:7], v[0:1], s[2:3]
	ds_read_b128 v[0:3], v240 offset:11200
	v_accvgpr_read_b32 v12, a84
	v_mul_f64 v[4:5], v[4:5], s[2:3]
	v_accvgpr_read_b32 v14, a86
	v_accvgpr_read_b32 v15, a87
	global_store_dwordx4 v[8:9], v[4:7], off
	v_accvgpr_read_b32 v13, a85
	v_mad_u64_u32 v[8:9], s[6:7], s0, v242, v[8:9]
	s_waitcnt lgkmcnt(0)
	v_mul_f64 v[4:5], v[14:15], v[2:3]
	v_fmac_f64_e32 v[4:5], v[12:13], v[0:1]
	v_mul_f64 v[0:1], v[14:15], v[0:1]
	v_fma_f64 v[0:1], v[12:13], v[2:3], -v[0:1]
	scratch_load_dwordx4 v[12:15], off, off offset:316 ; 16-byte Folded Reload
	v_mul_f64 v[6:7], v[0:1], s[2:3]
	ds_read_b128 v[0:3], v240 offset:16000
	v_mul_f64 v[4:5], v[4:5], s[2:3]
	v_add_u32_e32 v9, s4, v9
	global_store_dwordx4 v[8:9], v[4:7], off
	v_mad_u64_u32 v[8:9], s[6:7], s0, v242, v[8:9]
	v_add_u32_e32 v9, s4, v9
	s_waitcnt vmcnt(1) lgkmcnt(0)
	v_mul_f64 v[4:5], v[14:15], v[2:3]
	v_fmac_f64_e32 v[4:5], v[12:13], v[0:1]
	v_mul_f64 v[0:1], v[14:15], v[0:1]
	v_fma_f64 v[0:1], v[12:13], v[2:3], -v[0:1]
	scratch_load_dwordx4 v[12:15], off, off offset:268 ; 16-byte Folded Reload
	v_mul_f64 v[6:7], v[0:1], s[2:3]
	ds_read_b128 v[0:3], v240 offset:20800
	v_mul_f64 v[4:5], v[4:5], s[2:3]
	global_store_dwordx4 v[8:9], v[4:7], off
	v_mad_u64_u32 v[8:9], s[6:7], s0, v242, v[8:9]
	v_add_u32_e32 v9, s4, v9
	s_waitcnt vmcnt(1) lgkmcnt(0)
	v_mul_f64 v[4:5], v[14:15], v[2:3]
	v_fmac_f64_e32 v[4:5], v[12:13], v[0:1]
	v_mul_f64 v[0:1], v[14:15], v[0:1]
	v_fma_f64 v[0:1], v[12:13], v[2:3], -v[0:1]
	v_mul_f64 v[6:7], v[0:1], s[2:3]
	ds_read_b128 v[0:3], v240 offset:25600
	v_accvgpr_read_b32 v12, a88
	v_mul_f64 v[4:5], v[4:5], s[2:3]
	v_accvgpr_read_b32 v14, a90
	v_accvgpr_read_b32 v15, a91
	global_store_dwordx4 v[8:9], v[4:7], off
	v_accvgpr_read_b32 v13, a89
	v_mad_u64_u32 v[8:9], s[6:7], s0, v242, v[8:9]
	s_waitcnt lgkmcnt(0)
	v_mul_f64 v[4:5], v[14:15], v[2:3]
	v_fmac_f64_e32 v[4:5], v[12:13], v[0:1]
	v_mul_f64 v[0:1], v[14:15], v[0:1]
	v_fma_f64 v[0:1], v[12:13], v[2:3], -v[0:1]
	scratch_load_dwordx4 v[12:15], off, off offset:332 ; 16-byte Folded Reload
	v_mul_f64 v[6:7], v[0:1], s[2:3]
	ds_read_b128 v[0:3], v240 offset:30400
	v_mul_f64 v[4:5], v[4:5], s[2:3]
	v_add_u32_e32 v9, s4, v9
	global_store_dwordx4 v[8:9], v[4:7], off
	v_mad_u64_u32 v[8:9], s[6:7], s0, v242, v[8:9]
	v_add_u32_e32 v9, s4, v9
	s_waitcnt vmcnt(1) lgkmcnt(0)
	v_mul_f64 v[4:5], v[14:15], v[2:3]
	v_fmac_f64_e32 v[4:5], v[12:13], v[0:1]
	v_mul_f64 v[0:1], v[14:15], v[0:1]
	v_fma_f64 v[0:1], v[12:13], v[2:3], -v[0:1]
	scratch_load_dwordx4 v[12:15], off, off offset:284 ; 16-byte Folded Reload
	v_mul_f64 v[6:7], v[0:1], s[2:3]
	ds_read_b128 v[0:3], v240 offset:35200
	v_mul_f64 v[4:5], v[4:5], s[2:3]
	global_store_dwordx4 v[8:9], v[4:7], off
	v_mad_u64_u32 v[8:9], s[6:7], s0, v242, v[8:9]
	v_add_u32_e32 v9, s4, v9
	s_waitcnt vmcnt(1) lgkmcnt(0)
	v_mul_f64 v[4:5], v[14:15], v[2:3]
	v_fmac_f64_e32 v[4:5], v[12:13], v[0:1]
	v_mul_f64 v[0:1], v[14:15], v[0:1]
	v_fma_f64 v[0:1], v[12:13], v[2:3], -v[0:1]
	scratch_load_dwordx4 v[12:15], off, off offset:300 ; 16-byte Folded Reload
	v_mul_f64 v[6:7], v[0:1], s[2:3]
	ds_read_b128 v[0:3], v240 offset:40000
	v_mul_f64 v[4:5], v[4:5], s[2:3]
	;; [unrolled: 12-line block ×3, first 2 shown]
	global_store_dwordx4 v[8:9], v[4:7], off
	v_mad_u64_u32 v[8:9], s[6:7], s0, v242, v[8:9]
	v_add_u32_e32 v9, s4, v9
	s_waitcnt vmcnt(1) lgkmcnt(0)
	v_mul_f64 v[4:5], v[14:15], v[2:3]
	v_fmac_f64_e32 v[4:5], v[12:13], v[0:1]
	v_mul_f64 v[0:1], v[14:15], v[0:1]
	v_fma_f64 v[0:1], v[12:13], v[2:3], -v[0:1]
	v_mul_f64 v[6:7], v[0:1], s[2:3]
	ds_read_b128 v[0:3], v240 offset:3200
	v_accvgpr_read_b32 v12, a208
	v_mul_f64 v[4:5], v[4:5], s[2:3]
	v_accvgpr_read_b32 v14, a210
	v_accvgpr_read_b32 v15, a211
	global_store_dwordx4 v[8:9], v[4:7], off
	v_accvgpr_read_b32 v13, a209
	v_mad_u64_u32 v[8:9], s[6:7], s0, v10, v[8:9]
	s_waitcnt lgkmcnt(0)
	v_mul_f64 v[4:5], v[14:15], v[2:3]
	v_fmac_f64_e32 v[4:5], v[12:13], v[0:1]
	v_mul_f64 v[0:1], v[14:15], v[0:1]
	v_fma_f64 v[0:1], v[12:13], v[2:3], -v[0:1]
	v_mul_f64 v[6:7], v[0:1], s[2:3]
	ds_read_b128 v[0:3], v240 offset:8000
	v_accvgpr_read_b32 v10, a92
	v_mul_f64 v[4:5], v[4:5], s[2:3]
	v_add_u32_e32 v9, s1, v9
	v_accvgpr_read_b32 v12, a94
	v_accvgpr_read_b32 v13, a95
	global_store_dwordx4 v[8:9], v[4:7], off
	v_accvgpr_read_b32 v11, a93
	v_mad_u64_u32 v[8:9], s[6:7], s0, v242, v[8:9]
	s_waitcnt lgkmcnt(0)
	v_mul_f64 v[4:5], v[12:13], v[2:3]
	v_fmac_f64_e32 v[4:5], v[10:11], v[0:1]
	v_mul_f64 v[0:1], v[12:13], v[0:1]
	v_fma_f64 v[0:1], v[10:11], v[2:3], -v[0:1]
	v_mul_f64 v[6:7], v[0:1], s[2:3]
	ds_read_b128 v[0:3], v240 offset:12800
	v_accvgpr_read_b32 v10, a96
	v_mul_f64 v[4:5], v[4:5], s[2:3]
	v_add_u32_e32 v9, s4, v9
	;; [unrolled: 15-line block ×7, first 2 shown]
	v_accvgpr_read_b32 v12, a118
	v_accvgpr_read_b32 v13, a119
	global_store_dwordx4 v[8:9], v[4:7], off
	v_accvgpr_read_b32 v11, a117
	s_waitcnt lgkmcnt(0)
	v_mul_f64 v[4:5], v[12:13], v[2:3]
	v_fmac_f64_e32 v[4:5], v[10:11], v[0:1]
	v_mul_f64 v[0:1], v[12:13], v[0:1]
	v_fma_f64 v[0:1], v[10:11], v[2:3], -v[0:1]
	v_mul_f64 v[6:7], v[0:1], s[2:3]
	ds_read_b128 v[0:3], v240 offset:41600
	v_mad_u64_u32 v[10:11], s[6:7], s0, v242, v[8:9]
	v_accvgpr_read_b32 v12, a120
	v_mul_f64 v[4:5], v[4:5], s[2:3]
	v_add_u32_e32 v11, s4, v11
	v_accvgpr_read_b32 v14, a122
	v_accvgpr_read_b32 v15, a123
	global_store_dwordx4 v[10:11], v[4:7], off
	v_accvgpr_read_b32 v13, a121
	s_waitcnt lgkmcnt(0)
	v_mul_f64 v[4:5], v[14:15], v[2:3]
	v_fmac_f64_e32 v[4:5], v[12:13], v[0:1]
	v_mul_f64 v[0:1], v[14:15], v[0:1]
	v_mul_f64 v[6:7], v[4:5], s[2:3]
	v_fma_f64 v[0:1], v[12:13], v[2:3], -v[0:1]
	v_mad_u64_u32 v[4:5], s[6:7], s0, v242, v[10:11]
	v_mul_f64 v[8:9], v[0:1], s[2:3]
	v_add_u32_e32 v5, s4, v5
	global_store_dwordx4 v[4:5], v[6:9], off
	scratch_load_dwordx4 v[8:11], off, off offset:60 ; 16-byte Folded Reload
	ds_read_b128 v[0:3], v240 offset:46400
	s_waitcnt vmcnt(0) lgkmcnt(0)
	v_mul_f64 v[6:7], v[10:11], v[2:3]
	v_fmac_f64_e32 v[6:7], v[8:9], v[0:1]
	v_mul_f64 v[0:1], v[10:11], v[0:1]
	v_fma_f64 v[0:1], v[8:9], v[2:3], -v[0:1]
	v_mul_f64 v[8:9], v[0:1], s[2:3]
	v_mad_u64_u32 v[0:1], s[0:1], s0, v242, v[4:5]
	v_mul_f64 v[6:7], v[6:7], s[2:3]
	v_add_u32_e32 v1, s4, v1
	global_store_dwordx4 v[0:1], v[6:9], off
.LBB0_2:
	s_endpgm
	.section	.rodata,"a",@progbits
	.p2align	6, 0x0
	.amdhsa_kernel bluestein_single_back_len3000_dim1_dp_op_CI_CI
		.amdhsa_group_segment_fixed_size 48000
		.amdhsa_private_segment_fixed_size 352
		.amdhsa_kernarg_size 104
		.amdhsa_user_sgpr_count 2
		.amdhsa_user_sgpr_dispatch_ptr 0
		.amdhsa_user_sgpr_queue_ptr 0
		.amdhsa_user_sgpr_kernarg_segment_ptr 1
		.amdhsa_user_sgpr_dispatch_id 0
		.amdhsa_user_sgpr_kernarg_preload_length 0
		.amdhsa_user_sgpr_kernarg_preload_offset 0
		.amdhsa_user_sgpr_private_segment_size 0
		.amdhsa_uses_dynamic_stack 0
		.amdhsa_enable_private_segment 1
		.amdhsa_system_sgpr_workgroup_id_x 1
		.amdhsa_system_sgpr_workgroup_id_y 0
		.amdhsa_system_sgpr_workgroup_id_z 0
		.amdhsa_system_sgpr_workgroup_info 0
		.amdhsa_system_vgpr_workitem_id 0
		.amdhsa_next_free_vgpr 512
		.amdhsa_next_free_sgpr 32
		.amdhsa_accum_offset 256
		.amdhsa_reserve_vcc 1
		.amdhsa_float_round_mode_32 0
		.amdhsa_float_round_mode_16_64 0
		.amdhsa_float_denorm_mode_32 3
		.amdhsa_float_denorm_mode_16_64 3
		.amdhsa_dx10_clamp 1
		.amdhsa_ieee_mode 1
		.amdhsa_fp16_overflow 0
		.amdhsa_tg_split 0
		.amdhsa_exception_fp_ieee_invalid_op 0
		.amdhsa_exception_fp_denorm_src 0
		.amdhsa_exception_fp_ieee_div_zero 0
		.amdhsa_exception_fp_ieee_overflow 0
		.amdhsa_exception_fp_ieee_underflow 0
		.amdhsa_exception_fp_ieee_inexact 0
		.amdhsa_exception_int_div_zero 0
	.end_amdhsa_kernel
	.text
.Lfunc_end0:
	.size	bluestein_single_back_len3000_dim1_dp_op_CI_CI, .Lfunc_end0-bluestein_single_back_len3000_dim1_dp_op_CI_CI
                                        ; -- End function
	.section	.AMDGPU.csdata,"",@progbits
; Kernel info:
; codeLenInByte = 41120
; NumSgprs: 38
; NumVgprs: 256
; NumAgprs: 256
; TotalNumVgprs: 512
; ScratchSize: 352
; MemoryBound: 0
; FloatMode: 240
; IeeeMode: 1
; LDSByteSize: 48000 bytes/workgroup (compile time only)
; SGPRBlocks: 4
; VGPRBlocks: 63
; NumSGPRsForWavesPerEU: 38
; NumVGPRsForWavesPerEU: 512
; AccumOffset: 256
; Occupancy: 1
; WaveLimiterHint : 1
; COMPUTE_PGM_RSRC2:SCRATCH_EN: 1
; COMPUTE_PGM_RSRC2:USER_SGPR: 2
; COMPUTE_PGM_RSRC2:TRAP_HANDLER: 0
; COMPUTE_PGM_RSRC2:TGID_X_EN: 1
; COMPUTE_PGM_RSRC2:TGID_Y_EN: 0
; COMPUTE_PGM_RSRC2:TGID_Z_EN: 0
; COMPUTE_PGM_RSRC2:TIDIG_COMP_CNT: 0
; COMPUTE_PGM_RSRC3_GFX90A:ACCUM_OFFSET: 63
; COMPUTE_PGM_RSRC3_GFX90A:TG_SPLIT: 0
	.text
	.p2alignl 6, 3212836864
	.fill 256, 4, 3212836864
	.type	__hip_cuid_5dcf644ab68936ca,@object ; @__hip_cuid_5dcf644ab68936ca
	.section	.bss,"aw",@nobits
	.globl	__hip_cuid_5dcf644ab68936ca
__hip_cuid_5dcf644ab68936ca:
	.byte	0                               ; 0x0
	.size	__hip_cuid_5dcf644ab68936ca, 1

	.ident	"AMD clang version 19.0.0git (https://github.com/RadeonOpenCompute/llvm-project roc-6.4.0 25133 c7fe45cf4b819c5991fe208aaa96edf142730f1d)"
	.section	".note.GNU-stack","",@progbits
	.addrsig
	.addrsig_sym __hip_cuid_5dcf644ab68936ca
	.amdgpu_metadata
---
amdhsa.kernels:
  - .agpr_count:     256
    .args:
      - .actual_access:  read_only
        .address_space:  global
        .offset:         0
        .size:           8
        .value_kind:     global_buffer
      - .actual_access:  read_only
        .address_space:  global
        .offset:         8
        .size:           8
        .value_kind:     global_buffer
      - .actual_access:  read_only
        .address_space:  global
        .offset:         16
        .size:           8
        .value_kind:     global_buffer
      - .actual_access:  read_only
        .address_space:  global
        .offset:         24
        .size:           8
        .value_kind:     global_buffer
      - .actual_access:  read_only
        .address_space:  global
        .offset:         32
        .size:           8
        .value_kind:     global_buffer
      - .offset:         40
        .size:           8
        .value_kind:     by_value
      - .address_space:  global
        .offset:         48
        .size:           8
        .value_kind:     global_buffer
      - .address_space:  global
        .offset:         56
        .size:           8
        .value_kind:     global_buffer
      - .address_space:  global
        .offset:         64
        .size:           8
        .value_kind:     global_buffer
      - .address_space:  global
        .offset:         72
        .size:           8
        .value_kind:     global_buffer
      - .offset:         80
        .size:           4
        .value_kind:     by_value
      - .address_space:  global
        .offset:         88
        .size:           8
        .value_kind:     global_buffer
      - .address_space:  global
        .offset:         96
        .size:           8
        .value_kind:     global_buffer
    .group_segment_fixed_size: 48000
    .kernarg_segment_align: 8
    .kernarg_segment_size: 104
    .language:       OpenCL C
    .language_version:
      - 2
      - 0
    .max_flat_workgroup_size: 100
    .name:           bluestein_single_back_len3000_dim1_dp_op_CI_CI
    .private_segment_fixed_size: 352
    .sgpr_count:     38
    .sgpr_spill_count: 0
    .symbol:         bluestein_single_back_len3000_dim1_dp_op_CI_CI.kd
    .uniform_work_group_size: 1
    .uses_dynamic_stack: false
    .vgpr_count:     512
    .vgpr_spill_count: 87
    .wavefront_size: 64
amdhsa.target:   amdgcn-amd-amdhsa--gfx950
amdhsa.version:
  - 1
  - 2
...

	.end_amdgpu_metadata
